;; amdgpu-corpus repo=ROCm/rocFFT kind=compiled arch=gfx1030 opt=O3
	.text
	.amdgcn_target "amdgcn-amd-amdhsa--gfx1030"
	.amdhsa_code_object_version 6
	.protected	fft_rtc_fwd_len1734_factors_17_17_6_wgs_102_tpt_102_halfLds_sp_ip_CI_unitstride_sbrr_R2C_dirReg ; -- Begin function fft_rtc_fwd_len1734_factors_17_17_6_wgs_102_tpt_102_halfLds_sp_ip_CI_unitstride_sbrr_R2C_dirReg
	.globl	fft_rtc_fwd_len1734_factors_17_17_6_wgs_102_tpt_102_halfLds_sp_ip_CI_unitstride_sbrr_R2C_dirReg
	.p2align	8
	.type	fft_rtc_fwd_len1734_factors_17_17_6_wgs_102_tpt_102_halfLds_sp_ip_CI_unitstride_sbrr_R2C_dirReg,@function
fft_rtc_fwd_len1734_factors_17_17_6_wgs_102_tpt_102_halfLds_sp_ip_CI_unitstride_sbrr_R2C_dirReg: ; @fft_rtc_fwd_len1734_factors_17_17_6_wgs_102_tpt_102_halfLds_sp_ip_CI_unitstride_sbrr_R2C_dirReg
; %bb.0:
	s_clause 0x2
	s_load_dwordx4 s[8:11], s[4:5], 0x0
	s_load_dwordx2 s[2:3], s[4:5], 0x50
	s_load_dwordx2 s[12:13], s[4:5], 0x18
	v_mul_u32_u24_e32 v1, 0x283, v0
	v_mov_b32_e32 v3, 0
	v_add_nc_u32_sdwa v5, s6, v1 dst_sel:DWORD dst_unused:UNUSED_PAD src0_sel:DWORD src1_sel:WORD_1
	v_mov_b32_e32 v1, 0
	v_mov_b32_e32 v6, v3
	v_mov_b32_e32 v2, 0
	s_waitcnt lgkmcnt(0)
	v_cmp_lt_u64_e64 s0, s[10:11], 2
	s_and_b32 vcc_lo, exec_lo, s0
	s_cbranch_vccnz .LBB0_8
; %bb.1:
	s_load_dwordx2 s[0:1], s[4:5], 0x10
	v_mov_b32_e32 v1, 0
	s_add_u32 s6, s12, 8
	v_mov_b32_e32 v2, 0
	s_addc_u32 s7, s13, 0
	s_mov_b64 s[16:17], 1
	s_waitcnt lgkmcnt(0)
	s_add_u32 s14, s0, 8
	s_addc_u32 s15, s1, 0
.LBB0_2:                                ; =>This Inner Loop Header: Depth=1
	s_load_dwordx2 s[18:19], s[14:15], 0x0
                                        ; implicit-def: $vgpr7_vgpr8
	s_mov_b32 s0, exec_lo
	s_waitcnt lgkmcnt(0)
	v_or_b32_e32 v4, s19, v6
	v_cmpx_ne_u64_e32 0, v[3:4]
	s_xor_b32 s1, exec_lo, s0
	s_cbranch_execz .LBB0_4
; %bb.3:                                ;   in Loop: Header=BB0_2 Depth=1
	v_cvt_f32_u32_e32 v4, s18
	v_cvt_f32_u32_e32 v7, s19
	s_sub_u32 s0, 0, s18
	s_subb_u32 s20, 0, s19
	v_fmac_f32_e32 v4, 0x4f800000, v7
	v_rcp_f32_e32 v4, v4
	v_mul_f32_e32 v4, 0x5f7ffffc, v4
	v_mul_f32_e32 v7, 0x2f800000, v4
	v_trunc_f32_e32 v7, v7
	v_fmac_f32_e32 v4, 0xcf800000, v7
	v_cvt_u32_f32_e32 v7, v7
	v_cvt_u32_f32_e32 v4, v4
	v_mul_lo_u32 v8, s0, v7
	v_mul_hi_u32 v9, s0, v4
	v_mul_lo_u32 v10, s20, v4
	v_add_nc_u32_e32 v8, v9, v8
	v_mul_lo_u32 v9, s0, v4
	v_add_nc_u32_e32 v8, v8, v10
	v_mul_hi_u32 v10, v4, v9
	v_mul_lo_u32 v11, v4, v8
	v_mul_hi_u32 v12, v4, v8
	v_mul_hi_u32 v13, v7, v9
	v_mul_lo_u32 v9, v7, v9
	v_mul_hi_u32 v14, v7, v8
	v_mul_lo_u32 v8, v7, v8
	v_add_co_u32 v10, vcc_lo, v10, v11
	v_add_co_ci_u32_e32 v11, vcc_lo, 0, v12, vcc_lo
	v_add_co_u32 v9, vcc_lo, v10, v9
	v_add_co_ci_u32_e32 v9, vcc_lo, v11, v13, vcc_lo
	v_add_co_ci_u32_e32 v10, vcc_lo, 0, v14, vcc_lo
	v_add_co_u32 v8, vcc_lo, v9, v8
	v_add_co_ci_u32_e32 v9, vcc_lo, 0, v10, vcc_lo
	v_add_co_u32 v4, vcc_lo, v4, v8
	v_add_co_ci_u32_e32 v7, vcc_lo, v7, v9, vcc_lo
	v_mul_hi_u32 v8, s0, v4
	v_mul_lo_u32 v10, s20, v4
	v_mul_lo_u32 v9, s0, v7
	v_add_nc_u32_e32 v8, v8, v9
	v_mul_lo_u32 v9, s0, v4
	v_add_nc_u32_e32 v8, v8, v10
	v_mul_hi_u32 v10, v4, v9
	v_mul_lo_u32 v11, v4, v8
	v_mul_hi_u32 v12, v4, v8
	v_mul_hi_u32 v13, v7, v9
	v_mul_lo_u32 v9, v7, v9
	v_mul_hi_u32 v14, v7, v8
	v_mul_lo_u32 v8, v7, v8
	v_add_co_u32 v10, vcc_lo, v10, v11
	v_add_co_ci_u32_e32 v11, vcc_lo, 0, v12, vcc_lo
	v_add_co_u32 v9, vcc_lo, v10, v9
	v_add_co_ci_u32_e32 v9, vcc_lo, v11, v13, vcc_lo
	v_add_co_ci_u32_e32 v10, vcc_lo, 0, v14, vcc_lo
	v_add_co_u32 v8, vcc_lo, v9, v8
	v_add_co_ci_u32_e32 v9, vcc_lo, 0, v10, vcc_lo
	v_add_co_u32 v4, vcc_lo, v4, v8
	v_add_co_ci_u32_e32 v11, vcc_lo, v7, v9, vcc_lo
	v_mul_hi_u32 v13, v5, v4
	v_mad_u64_u32 v[9:10], null, v6, v4, 0
	v_mad_u64_u32 v[7:8], null, v5, v11, 0
	;; [unrolled: 1-line block ×3, first 2 shown]
	v_add_co_u32 v4, vcc_lo, v13, v7
	v_add_co_ci_u32_e32 v7, vcc_lo, 0, v8, vcc_lo
	v_add_co_u32 v4, vcc_lo, v4, v9
	v_add_co_ci_u32_e32 v4, vcc_lo, v7, v10, vcc_lo
	v_add_co_ci_u32_e32 v7, vcc_lo, 0, v12, vcc_lo
	v_add_co_u32 v4, vcc_lo, v4, v11
	v_add_co_ci_u32_e32 v9, vcc_lo, 0, v7, vcc_lo
	v_mul_lo_u32 v10, s19, v4
	v_mad_u64_u32 v[7:8], null, s18, v4, 0
	v_mul_lo_u32 v11, s18, v9
	v_sub_co_u32 v7, vcc_lo, v5, v7
	v_add3_u32 v8, v8, v11, v10
	v_sub_nc_u32_e32 v10, v6, v8
	v_subrev_co_ci_u32_e64 v10, s0, s19, v10, vcc_lo
	v_add_co_u32 v11, s0, v4, 2
	v_add_co_ci_u32_e64 v12, s0, 0, v9, s0
	v_sub_co_u32 v13, s0, v7, s18
	v_sub_co_ci_u32_e32 v8, vcc_lo, v6, v8, vcc_lo
	v_subrev_co_ci_u32_e64 v10, s0, 0, v10, s0
	v_cmp_le_u32_e32 vcc_lo, s18, v13
	v_cmp_eq_u32_e64 s0, s19, v8
	v_cndmask_b32_e64 v13, 0, -1, vcc_lo
	v_cmp_le_u32_e32 vcc_lo, s19, v10
	v_cndmask_b32_e64 v14, 0, -1, vcc_lo
	v_cmp_le_u32_e32 vcc_lo, s18, v7
	;; [unrolled: 2-line block ×3, first 2 shown]
	v_cndmask_b32_e64 v15, 0, -1, vcc_lo
	v_cmp_eq_u32_e32 vcc_lo, s19, v10
	v_cndmask_b32_e64 v7, v15, v7, s0
	v_cndmask_b32_e32 v10, v14, v13, vcc_lo
	v_add_co_u32 v13, vcc_lo, v4, 1
	v_add_co_ci_u32_e32 v14, vcc_lo, 0, v9, vcc_lo
	v_cmp_ne_u32_e32 vcc_lo, 0, v10
	v_cndmask_b32_e32 v8, v14, v12, vcc_lo
	v_cndmask_b32_e32 v10, v13, v11, vcc_lo
	v_cmp_ne_u32_e32 vcc_lo, 0, v7
	v_cndmask_b32_e32 v8, v9, v8, vcc_lo
	v_cndmask_b32_e32 v7, v4, v10, vcc_lo
.LBB0_4:                                ;   in Loop: Header=BB0_2 Depth=1
	s_andn2_saveexec_b32 s0, s1
	s_cbranch_execz .LBB0_6
; %bb.5:                                ;   in Loop: Header=BB0_2 Depth=1
	v_cvt_f32_u32_e32 v4, s18
	s_sub_i32 s1, 0, s18
	v_rcp_iflag_f32_e32 v4, v4
	v_mul_f32_e32 v4, 0x4f7ffffe, v4
	v_cvt_u32_f32_e32 v4, v4
	v_mul_lo_u32 v7, s1, v4
	v_mul_hi_u32 v7, v4, v7
	v_add_nc_u32_e32 v4, v4, v7
	v_mul_hi_u32 v4, v5, v4
	v_mul_lo_u32 v7, v4, s18
	v_add_nc_u32_e32 v8, 1, v4
	v_sub_nc_u32_e32 v7, v5, v7
	v_subrev_nc_u32_e32 v9, s18, v7
	v_cmp_le_u32_e32 vcc_lo, s18, v7
	v_cndmask_b32_e32 v7, v7, v9, vcc_lo
	v_cndmask_b32_e32 v4, v4, v8, vcc_lo
	v_cmp_le_u32_e32 vcc_lo, s18, v7
	v_add_nc_u32_e32 v8, 1, v4
	v_cndmask_b32_e32 v7, v4, v8, vcc_lo
	v_mov_b32_e32 v8, v3
.LBB0_6:                                ;   in Loop: Header=BB0_2 Depth=1
	s_or_b32 exec_lo, exec_lo, s0
	s_load_dwordx2 s[0:1], s[6:7], 0x0
	v_mul_lo_u32 v4, v8, s18
	v_mul_lo_u32 v11, v7, s19
	v_mad_u64_u32 v[9:10], null, v7, s18, 0
	s_add_u32 s16, s16, 1
	s_addc_u32 s17, s17, 0
	s_add_u32 s6, s6, 8
	s_addc_u32 s7, s7, 0
	;; [unrolled: 2-line block ×3, first 2 shown]
	v_add3_u32 v4, v10, v11, v4
	v_sub_co_u32 v5, vcc_lo, v5, v9
	v_sub_co_ci_u32_e32 v4, vcc_lo, v6, v4, vcc_lo
	s_waitcnt lgkmcnt(0)
	v_mul_lo_u32 v6, s1, v5
	v_mul_lo_u32 v4, s0, v4
	v_mad_u64_u32 v[1:2], null, s0, v5, v[1:2]
	v_cmp_ge_u64_e64 s0, s[16:17], s[10:11]
	s_and_b32 vcc_lo, exec_lo, s0
	v_add3_u32 v2, v6, v2, v4
	s_cbranch_vccnz .LBB0_9
; %bb.7:                                ;   in Loop: Header=BB0_2 Depth=1
	v_mov_b32_e32 v5, v7
	v_mov_b32_e32 v6, v8
	s_branch .LBB0_2
.LBB0_8:
	v_mov_b32_e32 v8, v6
	v_mov_b32_e32 v7, v5
.LBB0_9:
	s_lshl_b64 s[0:1], s[10:11], 3
	v_mul_hi_u32 v3, 0x2828283, v0
	s_add_u32 s0, s12, s0
	s_addc_u32 s1, s13, s1
	s_load_dwordx2 s[0:1], s[0:1], 0x0
	s_load_dwordx2 s[4:5], s[4:5], 0x20
	v_mul_u32_u24_e32 v3, 0x66, v3
	v_sub_nc_u32_e32 v32, v0, v3
	v_add_nc_u32_e32 v36, 0x66, v32
	v_add_nc_u32_e32 v38, 0xcc, v32
	s_waitcnt lgkmcnt(0)
	v_mul_lo_u32 v4, s0, v8
	v_mul_lo_u32 v5, s1, v7
	v_mad_u64_u32 v[1:2], null, s0, v7, v[1:2]
	v_cmp_gt_u64_e32 vcc_lo, s[4:5], v[7:8]
	v_cmp_le_u64_e64 s0, s[4:5], v[7:8]
	v_add3_u32 v2, v5, v2, v4
	s_and_saveexec_b32 s1, s0
	s_xor_b32 s0, exec_lo, s1
; %bb.10:
	v_add_nc_u32_e32 v36, 0x66, v32
	v_add_nc_u32_e32 v38, 0xcc, v32
; %bb.11:
	s_or_saveexec_b32 s1, s0
	v_lshlrev_b64 v[34:35], 3, v[1:2]
	v_lshl_add_u32 v45, v32, 3, 0
	s_xor_b32 exec_lo, exec_lo, s1
	s_cbranch_execz .LBB0_13
; %bb.12:
	v_mov_b32_e32 v33, 0
	v_add_co_u32 v2, s0, s2, v34
	v_add_co_ci_u32_e64 v3, s0, s3, v35, s0
	v_lshlrev_b64 v[0:1], 3, v[32:33]
	v_add_nc_u32_e32 v33, 0x400, v45
	v_add_nc_u32_e32 v37, 0x800, v45
	;; [unrolled: 1-line block ×5, first 2 shown]
	v_add_co_u32 v0, s0, v2, v0
	v_add_co_ci_u32_e64 v1, s0, v3, v1, s0
	v_add_nc_u32_e32 v44, 0x2400, v45
	v_add_co_u32 v2, s0, 0x800, v0
	v_add_co_ci_u32_e64 v3, s0, 0, v1, s0
	v_add_co_u32 v4, s0, 0x1000, v0
	v_add_co_ci_u32_e64 v5, s0, 0, v1, s0
	;; [unrolled: 2-line block ×5, first 2 shown]
	s_clause 0x3
	global_load_dwordx2 v[6:7], v[0:1], off
	global_load_dwordx2 v[8:9], v[0:1], off offset:816
	global_load_dwordx2 v[10:11], v[0:1], off offset:1632
	;; [unrolled: 1-line block ×3, first 2 shown]
	v_add_co_u32 v0, s0, 0x3000, v0
	v_add_co_ci_u32_e64 v1, s0, 0, v1, s0
	s_clause 0xc
	global_load_dwordx2 v[18:19], v[2:3], off offset:1216
	global_load_dwordx2 v[2:3], v[2:3], off offset:2032
	;; [unrolled: 1-line block ×13, first 2 shown]
	v_add_nc_u32_e32 v46, 0x2800, v45
	s_waitcnt vmcnt(15)
	ds_write2_b64 v45, v[6:7], v[8:9] offset1:102
	s_waitcnt vmcnt(13)
	ds_write2_b64 v33, v[10:11], v[12:13] offset0:76 offset1:178
	s_waitcnt vmcnt(11)
	ds_write2_b64 v37, v[18:19], v[2:3] offset0:152 offset1:254
	;; [unrolled: 2-line block ×7, first 2 shown]
	s_waitcnt vmcnt(0)
	ds_write_b64 v45, v[0:1] offset:13056
.LBB0_13:
	s_or_b32 exec_lo, exec_lo, s1
	s_waitcnt lgkmcnt(0)
	s_barrier
	buffer_gl0_inv
	ds_read2_b64 v[4:7], v45 offset1:102
	v_add_nc_u32_e32 v0, 0x400, v45
	ds_read_b64 v[39:40], v45 offset:13056
	ds_read2_b64 v[8:11], v0 offset0:76 offset1:178
	v_add_nc_u32_e32 v33, 0x1000, v45
	v_add_nc_u32_e32 v41, 0x800, v45
	v_add_nc_u32_e32 v0, 0x1c00, v45
	ds_read2_b64 v[28:31], v33 offset0:100 offset1:202
	ds_read2_b64 v[16:19], v0 offset0:124 offset1:226
	;; [unrolled: 1-line block ×3, first 2 shown]
	v_add_nc_u32_e32 v37, 0x1800, v45
	v_add_nc_u32_e32 v12, 0x2400, v45
	ds_read2_b64 v[0:3], v37 offset0:48 offset1:150
	ds_read2_b64 v[12:15], v12 offset0:72 offset1:174
	s_waitcnt lgkmcnt(7)
	v_add_f32_e32 v43, v4, v6
	v_add_f32_e32 v44, v5, v7
	v_add_nc_u32_e32 v42, 0x2800, v45
	v_cmp_gt_u32_e64 s0, 0x55, v32
	s_waitcnt lgkmcnt(6)
	v_sub_f32_e32 v57, v7, v40
	s_waitcnt lgkmcnt(5)
	v_add_f32_e32 v43, v43, v8
	v_add_f32_e32 v44, v44, v9
	ds_read2_b64 v[20:23], v42 offset0:148 offset1:250
	v_add_f32_e32 v56, v39, v6
	v_sub_f32_e32 v6, v6, v39
	v_add_f32_e32 v43, v43, v10
	v_add_f32_e32 v44, v44, v11
	s_waitcnt lgkmcnt(4)
	v_add_f32_e32 v48, v18, v28
	v_add_f32_e32 v49, v19, v29
	v_sub_f32_e32 v50, v28, v18
	s_waitcnt lgkmcnt(3)
	v_add_f32_e32 v46, v43, v24
	v_add_f32_e32 v47, v44, v25
	;; [unrolled: 1-line block ×4, first 2 shown]
	v_sub_f32_e32 v51, v29, v19
	v_add_f32_e32 v59, v46, v26
	v_add_f32_e32 v60, v47, v27
	v_sub_f32_e32 v46, v30, v16
	v_sub_f32_e32 v47, v31, v17
	s_waitcnt lgkmcnt(1)
	v_add_f32_e32 v58, v14, v24
	v_add_f32_e32 v61, v59, v28
	;; [unrolled: 1-line block ×4, first 2 shown]
	v_sub_f32_e32 v29, v24, v14
	v_sub_f32_e32 v59, v25, v15
	v_add_f32_e32 v30, v61, v30
	v_add_f32_e32 v31, v60, v31
	;; [unrolled: 1-line block ×4, first 2 shown]
	v_sub_f32_e32 v26, v26, v12
	v_add_f32_e32 v30, v30, v0
	v_add_f32_e32 v31, v31, v1
	v_sub_f32_e32 v27, v27, v13
	v_mul_f32_e32 v52, 0xbeb8f4ab, v57
	v_mul_f32_e32 v53, 0xbf2c7751, v57
	v_add_f32_e32 v30, v30, v2
	v_add_f32_e32 v31, v31, v3
	v_mul_f32_e32 v54, 0xbf65296c, v57
	v_mul_f32_e32 v55, 0xbf7ee86f, v57
	s_waitcnt lgkmcnt(0)
	v_add_f32_e32 v60, v22, v8
	v_add_f32_e32 v16, v30, v16
	;; [unrolled: 1-line block ×3, first 2 shown]
	v_sub_f32_e32 v8, v8, v22
	v_add_f32_e32 v62, v20, v10
	v_add_f32_e32 v30, v21, v11
	;; [unrolled: 1-line block ×4, first 2 shown]
	v_sub_f32_e32 v10, v10, v20
	v_sub_f32_e32 v11, v11, v21
	v_mul_f32_e32 v18, 0xbf763a35, v57
	v_add_f32_e32 v12, v16, v12
	v_add_f32_e32 v13, v17, v13
	v_mul_f32_e32 v19, 0xbf4c4adb, v57
	v_add_f32_e32 v7, v40, v7
	v_mul_f32_e32 v63, 0xbf2c7751, v6
	v_add_f32_e32 v12, v12, v14
	v_add_f32_e32 v13, v13, v15
	v_mul_f32_e32 v65, 0xbf65296c, v6
	v_mul_f32_e32 v67, 0xbf7ee86f, v6
	;; [unrolled: 1-line block ×3, first 2 shown]
	v_add_f32_e32 v12, v12, v20
	v_add_f32_e32 v13, v13, v21
	v_mul_f32_e32 v20, 0xbf06c442, v57
	v_mul_f32_e32 v21, 0xbe3c28d5, v57
	;; [unrolled: 1-line block ×6, first 2 shown]
	v_add_f32_e32 v61, v23, v9
	v_sub_f32_e32 v9, v9, v23
	v_fma_f32 v31, 0x3f6eb680, v56, -v52
	v_fmac_f32_e32 v52, 0x3f6eb680, v56
	v_fma_f32 v16, 0x3f3d2fb0, v56, -v53
	v_fmac_f32_e32 v53, 0x3f3d2fb0, v56
	;; [unrolled: 2-line block ×5, first 2 shown]
	v_add_f32_e32 v12, v12, v22
	v_add_f32_e32 v13, v13, v23
	v_fma_f32 v22, 0xbf1a4643, v56, -v19
	v_fmac_f32_e32 v19, 0xbf1a4643, v56
	v_fma_f32 v23, 0xbf59a7d5, v56, -v20
	v_fmac_f32_e32 v20, 0xbf59a7d5, v56
	;; [unrolled: 2-line block ×3, first 2 shown]
	v_fmamk_f32 v56, v7, 0x3f6eb680, v57
	v_fma_f32 v57, 0x3f6eb680, v7, -v57
	v_fmamk_f32 v66, v7, 0x3f3d2fb0, v63
	v_fma_f32 v63, 0x3f3d2fb0, v7, -v63
	;; [unrolled: 2-line block ×8, first 2 shown]
	v_mul_f32_e32 v77, 0xbf2c7751, v8
	v_add_f32_e32 v7, v4, v31
	v_add_f32_e32 v31, v5, v56
	;; [unrolled: 1-line block ×29, first 2 shown]
	v_mul_f32_e32 v75, 0xbf2c7751, v9
	v_add_f32_e32 v76, v5, v76
	v_add_f32_e32 v21, v4, v21
	;; [unrolled: 1-line block ×5, first 2 shown]
	v_fmamk_f32 v12, v61, 0x3f3d2fb0, v77
	v_mul_f32_e32 v13, 0xbf7ee86f, v9
	v_fma_f32 v39, 0x3f3d2fb0, v61, -v77
	v_fma_f32 v78, 0x3f3d2fb0, v60, -v75
	v_fmac_f32_e32 v75, 0x3f3d2fb0, v60
	v_add_f32_e32 v12, v12, v31
	v_fma_f32 v31, 0x3dbcf732, v60, -v13
	v_mul_f32_e32 v40, 0xbf7ee86f, v8
	v_add_f32_e32 v39, v39, v56
	v_mul_f32_e32 v56, 0xbf4c4adb, v9
	v_add_f32_e32 v52, v75, v52
	v_add_f32_e32 v16, v31, v16
	v_fmamk_f32 v31, v61, 0x3dbcf732, v40
	v_fmac_f32_e32 v13, 0x3dbcf732, v60
	v_fma_f32 v40, 0x3dbcf732, v61, -v40
	v_fma_f32 v75, 0xbf1a4643, v60, -v56
	v_mul_f32_e32 v77, 0xbf4c4adb, v8
	v_add_f32_e32 v31, v31, v57
	v_add_f32_e32 v13, v13, v53
	;; [unrolled: 1-line block ×4, first 2 shown]
	v_fmamk_f32 v53, v61, 0xbf1a4643, v77
	v_mul_f32_e32 v57, 0xbe3c28d5, v9
	v_fmac_f32_e32 v56, 0xbf1a4643, v60
	v_fma_f32 v63, 0xbf1a4643, v61, -v77
	v_mul_f32_e32 v75, 0xbe3c28d5, v8
	v_add_f32_e32 v53, v53, v66
	v_fma_f32 v66, 0xbf7ba420, v60, -v57
	v_add_f32_e32 v54, v56, v54
	v_add_f32_e32 v56, v63, v65
	v_fmamk_f32 v63, v61, 0xbf7ba420, v75
	v_mul_f32_e32 v65, 0x3f06c442, v9
	v_add_f32_e32 v15, v66, v15
	v_fmac_f32_e32 v57, 0xbf7ba420, v60
	v_fma_f32 v66, 0xbf7ba420, v61, -v75
	v_add_f32_e32 v63, v63, v68
	v_fma_f32 v68, 0xbf59a7d5, v60, -v65
	v_mul_f32_e32 v75, 0x3f06c442, v8
	v_add_f32_e32 v55, v57, v55
	v_add_f32_e32 v57, v66, v67
	v_mul_f32_e32 v66, 0x3f763a35, v9
	v_add_f32_e32 v17, v68, v17
	v_fmac_f32_e32 v65, 0xbf59a7d5, v60
	v_fma_f32 v68, 0xbf59a7d5, v61, -v75
	v_fmamk_f32 v67, v61, 0xbf59a7d5, v75
	v_fma_f32 v75, 0xbe8c1d8e, v60, -v66
	v_fmac_f32_e32 v66, 0xbe8c1d8e, v60
	v_add_f32_e32 v18, v65, v18
	v_add_f32_e32 v65, v68, v69
	v_mul_f32_e32 v69, 0x3f65296c, v9
	v_mul_f32_e32 v77, 0x3f763a35, v8
	v_add_f32_e32 v19, v66, v19
	v_mul_f32_e32 v9, 0x3eb8f4ab, v9
	v_add_f32_e32 v67, v67, v70
	v_fma_f32 v66, 0x3ee437d1, v60, -v69
	v_fmac_f32_e32 v69, 0x3ee437d1, v60
	v_fmamk_f32 v68, v61, 0xbe8c1d8e, v77
	v_mul_f32_e32 v70, 0x3f65296c, v8
	v_mul_f32_e32 v8, 0x3eb8f4ab, v8
	v_add_f32_e32 v22, v75, v22
	v_add_f32_e32 v20, v69, v20
	v_fma_f32 v69, 0x3f6eb680, v60, -v9
	v_fma_f32 v75, 0xbe8c1d8e, v61, -v77
	v_add_f32_e32 v68, v68, v72
	v_fmamk_f32 v72, v61, 0x3ee437d1, v70
	v_fma_f32 v70, 0x3ee437d1, v61, -v70
	v_fmac_f32_e32 v9, 0x3f6eb680, v60
	v_fmamk_f32 v60, v61, 0x3f6eb680, v8
	v_fma_f32 v8, 0x3f6eb680, v61, -v8
	v_mul_f32_e32 v61, 0xbf65296c, v11
	v_add_f32_e32 v64, v69, v64
	v_mul_f32_e32 v69, 0xbf65296c, v10
	v_add_f32_e32 v7, v78, v7
	v_add_f32_e32 v23, v66, v23
	;; [unrolled: 1-line block ×3, first 2 shown]
	v_fma_f32 v72, 0x3ee437d1, v62, -v61
	v_add_f32_e32 v9, v9, v21
	v_add_f32_e32 v6, v8, v6
	v_fmamk_f32 v8, v30, 0x3ee437d1, v69
	v_mul_f32_e32 v21, 0xbf4c4adb, v11
	v_fmac_f32_e32 v61, 0x3ee437d1, v62
	v_add_f32_e32 v7, v72, v7
	v_fma_f32 v69, 0x3ee437d1, v30, -v69
	v_add_f32_e32 v8, v8, v12
	v_fma_f32 v12, 0xbf1a4643, v62, -v21
	v_mul_f32_e32 v72, 0xbf4c4adb, v10
	v_add_f32_e32 v52, v61, v52
	v_mul_f32_e32 v61, 0x3e3c28d5, v11
	v_add_f32_e32 v70, v70, v73
	v_add_f32_e32 v39, v69, v39
	v_add_f32_e32 v12, v12, v16
	v_fmamk_f32 v16, v30, 0xbf1a4643, v72
	v_fmac_f32_e32 v21, 0xbf1a4643, v62
	v_fma_f32 v69, 0xbf1a4643, v30, -v72
	v_fma_f32 v72, 0xbf7ba420, v62, -v61
	v_mul_f32_e32 v73, 0x3e3c28d5, v10
	v_add_f32_e32 v16, v16, v31
	v_add_f32_e32 v13, v21, v13
	;; [unrolled: 1-line block ×4, first 2 shown]
	v_fmamk_f32 v31, v30, 0xbf7ba420, v73
	v_mul_f32_e32 v40, 0x3f763a35, v11
	v_fmac_f32_e32 v61, 0xbf7ba420, v62
	v_fma_f32 v69, 0xbf7ba420, v30, -v73
	v_mul_f32_e32 v72, 0x3f763a35, v10
	v_add_f32_e32 v31, v31, v53
	v_fma_f32 v53, 0xbe8c1d8e, v62, -v40
	v_add_f32_e32 v54, v61, v54
	v_add_f32_e32 v56, v69, v56
	v_fmamk_f32 v61, v30, 0xbe8c1d8e, v72
	v_mul_f32_e32 v69, 0x3f2c7751, v11
	v_add_f32_e32 v15, v53, v15
	v_fmac_f32_e32 v40, 0xbe8c1d8e, v62
	v_fma_f32 v53, 0xbe8c1d8e, v30, -v72
	v_add_f32_e32 v61, v61, v63
	v_fma_f32 v63, 0x3f3d2fb0, v62, -v69
	v_mul_f32_e32 v72, 0x3f2c7751, v10
	v_add_f32_e32 v40, v40, v55
	v_add_f32_e32 v53, v53, v57
	v_mul_f32_e32 v55, 0xbeb8f4ab, v11
	v_add_f32_e32 v17, v63, v17
	v_fmamk_f32 v57, v30, 0x3f3d2fb0, v72
	v_fmac_f32_e32 v69, 0x3f3d2fb0, v62
	v_fma_f32 v63, 0x3f3d2fb0, v30, -v72
	v_mul_f32_e32 v73, 0xbeb8f4ab, v10
	v_fma_f32 v72, 0x3f6eb680, v62, -v55
	v_add_f32_e32 v57, v57, v67
	v_add_f32_e32 v18, v69, v18
	;; [unrolled: 1-line block ×3, first 2 shown]
	v_fmamk_f32 v65, v30, 0x3f6eb680, v73
	v_fmac_f32_e32 v55, 0x3f6eb680, v62
	v_mul_f32_e32 v67, 0xbf7ee86f, v11
	v_mul_f32_e32 v69, 0xbf7ee86f, v10
	;; [unrolled: 1-line block ×3, first 2 shown]
	v_add_f32_e32 v65, v65, v68
	v_add_f32_e32 v19, v55, v19
	v_fma_f32 v55, 0x3dbcf732, v62, -v67
	v_fmamk_f32 v68, v30, 0x3dbcf732, v69
	v_fmac_f32_e32 v67, 0x3dbcf732, v62
	v_mul_f32_e32 v10, 0xbf06c442, v10
	v_add_f32_e32 v60, v60, v76
	v_add_f32_e32 v22, v72, v22
	v_fma_f32 v72, 0x3f6eb680, v30, -v73
	v_add_f32_e32 v23, v55, v23
	v_add_f32_e32 v55, v68, v66
	;; [unrolled: 1-line block ×3, first 2 shown]
	v_fma_f32 v66, 0xbf59a7d5, v62, -v11
	v_fma_f32 v67, 0x3dbcf732, v30, -v69
	v_fmac_f32_e32 v11, 0xbf59a7d5, v62
	v_fmamk_f32 v62, v30, 0xbf59a7d5, v10
	v_fma_f32 v10, 0xbf59a7d5, v30, -v10
	v_mul_f32_e32 v30, 0xbf7ee86f, v59
	v_add_f32_e32 v64, v66, v64
	v_mul_f32_e32 v66, 0xbf7ee86f, v29
	v_add_f32_e32 v60, v62, v60
	v_add_f32_e32 v6, v10, v6
	v_fma_f32 v62, 0x3dbcf732, v58, -v30
	v_fmac_f32_e32 v30, 0x3dbcf732, v58
	v_fmamk_f32 v10, v28, 0x3dbcf732, v66
	v_add_f32_e32 v9, v11, v9
	v_mul_f32_e32 v11, 0xbe3c28d5, v59
	v_add_f32_e32 v7, v62, v7
	v_fma_f32 v62, 0x3dbcf732, v28, -v66
	v_mul_f32_e32 v66, 0xbe3c28d5, v29
	v_add_f32_e32 v8, v10, v8
	v_add_f32_e32 v10, v30, v52
	v_mul_f32_e32 v52, 0x3f763a35, v59
	v_add_f32_e32 v30, v62, v39
	v_fmamk_f32 v39, v28, 0xbf7ba420, v66
	v_fma_f32 v68, 0xbf7ba420, v58, -v11
	v_fmac_f32_e32 v11, 0xbf7ba420, v58
	v_fma_f32 v62, 0xbf7ba420, v28, -v66
	v_mul_f32_e32 v66, 0x3f763a35, v29
	v_add_f32_e32 v16, v39, v16
	v_fma_f32 v39, 0xbe8c1d8e, v58, -v52
	v_add_f32_e32 v11, v11, v13
	v_add_f32_e32 v13, v62, v21
	v_fmamk_f32 v21, v28, 0xbe8c1d8e, v66
	v_fmac_f32_e32 v52, 0xbe8c1d8e, v58
	v_add_f32_e32 v14, v39, v14
	v_fma_f32 v39, 0xbe8c1d8e, v28, -v66
	v_mul_f32_e32 v66, 0x3eb8f4ab, v29
	v_mul_f32_e32 v62, 0x3eb8f4ab, v59
	v_add_f32_e32 v21, v21, v31
	v_add_f32_e32 v31, v52, v54
	v_mul_f32_e32 v54, 0xbf65296c, v59
	v_fmamk_f32 v52, v28, 0x3f6eb680, v66
	v_add_f32_e32 v12, v68, v12
	v_fma_f32 v68, 0x3f6eb680, v58, -v62
	v_add_f32_e32 v39, v39, v56
	v_fmac_f32_e32 v62, 0x3f6eb680, v58
	v_fma_f32 v56, 0x3f6eb680, v28, -v66
	v_mul_f32_e32 v66, 0xbf65296c, v29
	v_add_f32_e32 v52, v52, v61
	v_fma_f32 v61, 0x3ee437d1, v58, -v54
	v_add_f32_e32 v40, v62, v40
	v_mul_f32_e32 v62, 0xbf06c442, v59
	v_fmac_f32_e32 v54, 0x3ee437d1, v58
	v_add_f32_e32 v15, v68, v15
	v_add_f32_e32 v17, v61, v17
	v_fma_f32 v61, 0x3ee437d1, v28, -v66
	v_fma_f32 v68, 0xbf59a7d5, v58, -v62
	v_add_f32_e32 v18, v54, v18
	v_fmac_f32_e32 v62, 0xbf59a7d5, v58
	v_add_f32_e32 v53, v56, v53
	v_add_f32_e32 v54, v61, v63
	v_mul_f32_e32 v61, 0x3f4c4adb, v59
	v_fmamk_f32 v56, v28, 0x3ee437d1, v66
	v_mul_f32_e32 v66, 0xbf06c442, v29
	v_add_f32_e32 v19, v62, v19
	v_mul_f32_e32 v59, 0x3f2c7751, v59
	v_fma_f32 v62, 0xbf1a4643, v58, -v61
	v_fmac_f32_e32 v61, 0xbf1a4643, v58
	v_add_f32_e32 v56, v56, v57
	v_fmamk_f32 v57, v28, 0xbf59a7d5, v66
	v_mul_f32_e32 v63, 0x3f4c4adb, v29
	v_mul_f32_e32 v29, 0x3f2c7751, v29
	v_add_f32_e32 v20, v61, v20
	v_fma_f32 v61, 0x3f3d2fb0, v58, -v59
	v_add_f32_e32 v67, v67, v70
	v_add_f32_e32 v57, v57, v65
	v_fma_f32 v65, 0xbf59a7d5, v28, -v66
	v_fmamk_f32 v66, v28, 0xbf1a4643, v63
	v_add_f32_e32 v23, v62, v23
	v_fma_f32 v62, 0xbf1a4643, v28, -v63
	v_fmac_f32_e32 v59, 0x3f3d2fb0, v58
	v_mul_f32_e32 v58, 0xbf763a35, v27
	v_fmamk_f32 v63, v28, 0x3f3d2fb0, v29
	v_fma_f32 v28, 0x3f3d2fb0, v28, -v29
	v_add_f32_e32 v61, v61, v64
	v_mul_f32_e32 v64, 0xbf763a35, v26
	v_add_f32_e32 v29, v62, v67
	v_fma_f32 v62, 0xbe8c1d8e, v24, -v58
	v_add_f32_e32 v9, v59, v9
	v_add_f32_e32 v6, v28, v6
	v_fmamk_f32 v28, v25, 0xbe8c1d8e, v64
	v_mul_f32_e32 v59, 0x3f06c442, v27
	v_add_f32_e32 v60, v63, v60
	v_add_f32_e32 v7, v62, v7
	v_fmac_f32_e32 v58, 0xbe8c1d8e, v24
	v_fma_f32 v62, 0xbe8c1d8e, v25, -v64
	v_mul_f32_e32 v63, 0x3f06c442, v26
	v_add_f32_e32 v8, v28, v8
	v_fma_f32 v28, 0xbf59a7d5, v24, -v59
	v_add_f32_e32 v10, v58, v10
	v_add_f32_e32 v30, v62, v30
	v_fmamk_f32 v58, v25, 0xbf59a7d5, v63
	v_mul_f32_e32 v62, 0x3f2c7751, v27
	v_add_f32_e32 v12, v28, v12
	v_fma_f32 v28, 0xbf59a7d5, v25, -v63
	v_fmac_f32_e32 v59, 0xbf59a7d5, v24
	v_add_f32_e32 v16, v58, v16
	v_fma_f32 v58, 0x3f3d2fb0, v24, -v62
	v_mul_f32_e32 v63, 0x3f2c7751, v26
	v_add_f32_e32 v13, v28, v13
	v_mul_f32_e32 v28, 0xbf65296c, v27
	v_add_f32_e32 v11, v59, v11
	v_add_f32_e32 v14, v58, v14
	v_fmamk_f32 v58, v25, 0x3f3d2fb0, v63
	v_fmac_f32_e32 v62, 0x3f3d2fb0, v24
	v_fma_f32 v59, 0x3f3d2fb0, v25, -v63
	v_fma_f32 v63, 0x3ee437d1, v24, -v28
	v_mul_f32_e32 v64, 0xbf65296c, v26
	v_add_f32_e32 v21, v58, v21
	v_add_f32_e32 v31, v62, v31
	;; [unrolled: 1-line block ×4, first 2 shown]
	v_fmamk_f32 v58, v25, 0x3ee437d1, v64
	v_mul_f32_e32 v59, 0xbe3c28d5, v27
	v_fmac_f32_e32 v28, 0x3ee437d1, v24
	v_fma_f32 v62, 0x3ee437d1, v25, -v64
	v_mul_f32_e32 v63, 0xbe3c28d5, v26
	v_add_f32_e32 v71, v75, v71
	v_add_f32_e32 v52, v58, v52
	v_fma_f32 v58, 0xbf7ba420, v24, -v59
	v_add_f32_e32 v28, v28, v40
	v_add_f32_e32 v40, v62, v53
	v_fmamk_f32 v53, v25, 0xbf7ba420, v63
	v_mul_f32_e32 v62, 0x3f7ee86f, v27
	v_add_f32_e32 v71, v72, v71
	v_add_f32_e32 v22, v68, v22
	;; [unrolled: 1-line block ×3, first 2 shown]
	v_fmac_f32_e32 v59, 0xbf7ba420, v24
	v_fma_f32 v58, 0xbf7ba420, v25, -v63
	v_add_f32_e32 v53, v53, v56
	v_fma_f32 v56, 0x3dbcf732, v24, -v62
	v_mul_f32_e32 v63, 0x3f7ee86f, v26
	v_add_f32_e32 v65, v65, v71
	v_add_f32_e32 v18, v59, v18
	;; [unrolled: 1-line block ×3, first 2 shown]
	v_mul_f32_e32 v58, 0xbeb8f4ab, v27
	v_add_f32_e32 v22, v56, v22
	v_fmamk_f32 v56, v25, 0x3dbcf732, v63
	v_fmac_f32_e32 v62, 0x3dbcf732, v24
	v_fma_f32 v59, 0x3dbcf732, v25, -v63
	v_mul_f32_e32 v64, 0xbeb8f4ab, v26
	v_add_f32_e32 v55, v66, v55
	v_fma_f32 v63, 0x3f6eb680, v24, -v58
	v_add_f32_e32 v56, v56, v57
	v_add_f32_e32 v19, v62, v19
	;; [unrolled: 1-line block ×3, first 2 shown]
	v_fmamk_f32 v59, v25, 0x3f6eb680, v64
	v_mul_f32_e32 v27, 0xbf4c4adb, v27
	v_fmac_f32_e32 v58, 0x3f6eb680, v24
	v_fma_f32 v62, 0x3f6eb680, v25, -v64
	v_mul_f32_e32 v26, 0xbf4c4adb, v26
	v_add_f32_e32 v55, v59, v55
	v_fma_f32 v59, 0xbf1a4643, v24, -v27
	v_add_f32_e32 v20, v58, v20
	v_add_f32_e32 v29, v62, v29
	v_fmamk_f32 v58, v25, 0xbf1a4643, v26
	v_mul_f32_e32 v62, 0xbf4c4adb, v51
	v_fmac_f32_e32 v27, 0xbf1a4643, v24
	v_fma_f32 v24, 0xbf1a4643, v25, -v26
	v_add_f32_e32 v59, v59, v61
	v_add_f32_e32 v25, v58, v60
	v_fma_f32 v26, 0xbf1a4643, v48, -v62
	v_mul_f32_e32 v58, 0xbf4c4adb, v50
	v_add_f32_e32 v6, v24, v6
	v_mul_f32_e32 v24, 0x3f763a35, v51
	v_add_f32_e32 v9, v27, v9
	v_add_f32_e32 v7, v26, v7
	v_fmamk_f32 v26, v49, 0xbf1a4643, v58
	v_fma_f32 v27, 0xbf1a4643, v49, -v58
	v_fma_f32 v58, 0xbe8c1d8e, v48, -v24
	v_mul_f32_e32 v60, 0x3f763a35, v50
	v_fmac_f32_e32 v24, 0xbe8c1d8e, v48
	v_add_f32_e32 v8, v26, v8
	v_add_f32_e32 v26, v27, v30
	;; [unrolled: 1-line block ×3, first 2 shown]
	v_fmamk_f32 v27, v49, 0xbe8c1d8e, v60
	v_mul_f32_e32 v30, 0xbeb8f4ab, v51
	v_fma_f32 v58, 0xbe8c1d8e, v49, -v60
	v_mul_f32_e32 v60, 0xbeb8f4ab, v50
	v_add_f32_e32 v11, v24, v11
	v_add_f32_e32 v16, v27, v16
	v_fma_f32 v27, 0x3f6eb680, v48, -v30
	v_add_f32_e32 v13, v58, v13
	v_fmamk_f32 v24, v49, 0x3f6eb680, v60
	v_mul_f32_e32 v58, 0xbf06c442, v51
	v_fmac_f32_e32 v30, 0x3f6eb680, v48
	v_add_f32_e32 v14, v27, v14
	v_fma_f32 v27, 0x3f6eb680, v49, -v60
	v_add_f32_e32 v21, v24, v21
	v_fma_f32 v24, 0xbf59a7d5, v48, -v58
	v_mul_f32_e32 v60, 0xbf06c442, v50
	v_add_f32_e32 v30, v30, v31
	v_mul_f32_e32 v31, 0x3f7ee86f, v51
	v_add_f32_e32 v27, v27, v39
	v_add_f32_e32 v15, v24, v15
	v_fmamk_f32 v24, v49, 0xbf59a7d5, v60
	v_fmac_f32_e32 v58, 0xbf59a7d5, v48
	v_fma_f32 v39, 0xbf59a7d5, v49, -v60
	v_fma_f32 v60, 0x3dbcf732, v48, -v31
	v_mul_f32_e32 v61, 0x3f7ee86f, v50
	v_add_f32_e32 v24, v24, v52
	v_add_f32_e32 v28, v58, v28
	v_add_f32_e32 v39, v39, v40
	v_add_f32_e32 v17, v60, v17
	v_fmamk_f32 v40, v49, 0x3dbcf732, v61
	v_mul_f32_e32 v52, 0xbf2c7751, v51
	v_fmac_f32_e32 v31, 0x3dbcf732, v48
	v_fma_f32 v58, 0x3dbcf732, v49, -v61
	v_mul_f32_e32 v60, 0xbf2c7751, v50
	v_add_f32_e32 v40, v40, v53
	v_fma_f32 v53, 0x3f3d2fb0, v48, -v52
	v_add_f32_e32 v18, v31, v18
	v_add_f32_e32 v31, v58, v54
	v_fmamk_f32 v54, v49, 0x3f3d2fb0, v60
	v_mul_f32_e32 v58, 0xbe3c28d5, v51
	v_add_f32_e32 v23, v63, v23
	v_add_f32_e32 v22, v53, v22
	v_fmac_f32_e32 v52, 0x3f3d2fb0, v48
	v_fma_f32 v53, 0x3f3d2fb0, v49, -v60
	v_add_f32_e32 v54, v54, v56
	v_fma_f32 v56, 0xbf7ba420, v48, -v58
	v_mul_f32_e32 v60, 0xbe3c28d5, v50
	v_mul_f32_e32 v51, 0x3f65296c, v51
	v_add_f32_e32 v19, v52, v19
	v_add_f32_e32 v52, v53, v57
	v_add_f32_e32 v23, v56, v23
	v_fmamk_f32 v53, v49, 0xbf7ba420, v60
	v_fma_f32 v56, 0xbf7ba420, v49, -v60
	v_fma_f32 v57, 0x3ee437d1, v48, -v51
	v_mul_f32_e32 v50, 0x3f65296c, v50
	v_fmac_f32_e32 v62, 0xbf1a4643, v48
	v_fmac_f32_e32 v58, 0xbf7ba420, v48
	v_add_f32_e32 v53, v53, v55
	v_add_f32_e32 v29, v56, v29
	;; [unrolled: 1-line block ×3, first 2 shown]
	v_fmamk_f32 v56, v49, 0x3ee437d1, v50
	v_mul_f32_e32 v57, 0xbf06c442, v47
	v_fmac_f32_e32 v51, 0x3ee437d1, v48
	v_fma_f32 v48, 0x3ee437d1, v49, -v50
	v_mul_f32_e32 v49, 0xbf06c442, v46
	v_add_f32_e32 v10, v62, v10
	v_fma_f32 v50, 0xbf59a7d5, v43, -v57
	v_add_f32_e32 v9, v51, v9
	v_add_f32_e32 v6, v48, v6
	v_fmamk_f32 v48, v44, 0xbf59a7d5, v49
	v_mul_f32_e32 v51, 0x3f65296c, v47
	v_fma_f32 v49, 0xbf59a7d5, v44, -v49
	v_add_f32_e32 v7, v50, v7
	v_fmac_f32_e32 v57, 0xbf59a7d5, v43
	v_add_f32_e32 v8, v48, v8
	v_fma_f32 v48, 0x3ee437d1, v43, -v51
	v_mul_f32_e32 v50, 0x3f65296c, v46
	v_add_f32_e32 v26, v49, v26
	v_mul_f32_e32 v49, 0xbf7ee86f, v47
	v_add_f32_e32 v25, v56, v25
	v_add_f32_e32 v10, v57, v10
	;; [unrolled: 1-line block ×3, first 2 shown]
	v_fmamk_f32 v48, v44, 0x3ee437d1, v50
	v_fmac_f32_e32 v51, 0x3ee437d1, v43
	v_fma_f32 v50, 0x3ee437d1, v44, -v50
	v_fma_f32 v56, 0x3dbcf732, v43, -v49
	v_mul_f32_e32 v57, 0xbf7ee86f, v46
	v_add_f32_e32 v16, v48, v16
	v_add_f32_e32 v11, v51, v11
	;; [unrolled: 1-line block ×4, first 2 shown]
	v_fmamk_f32 v48, v44, 0x3dbcf732, v57
	v_mul_f32_e32 v50, 0x3f4c4adb, v47
	v_fmac_f32_e32 v49, 0x3dbcf732, v43
	v_fma_f32 v51, 0x3dbcf732, v44, -v57
	v_mul_f32_e32 v56, 0x3f4c4adb, v46
	v_add_f32_e32 v21, v48, v21
	v_fma_f32 v48, 0xbf1a4643, v43, -v50
	v_add_f32_e32 v30, v49, v30
	v_add_f32_e32 v27, v51, v27
	v_fmamk_f32 v49, v44, 0xbf1a4643, v56
	v_mul_f32_e32 v51, 0xbeb8f4ab, v47
	v_add_f32_e32 v15, v48, v15
	v_fma_f32 v48, 0xbf1a4643, v44, -v56
	v_mul_f32_e32 v56, 0xbeb8f4ab, v46
	v_add_f32_e32 v24, v49, v24
	v_fma_f32 v49, 0x3f6eb680, v43, -v51
	v_fmac_f32_e32 v50, 0xbf1a4643, v43
	v_add_f32_e32 v39, v48, v39
	v_mul_f32_e32 v48, 0xbe3c28d5, v47
	v_fmac_f32_e32 v51, 0x3f6eb680, v43
	v_add_f32_e32 v49, v49, v17
	v_fmamk_f32 v17, v44, 0x3f6eb680, v56
	v_mul_f32_e32 v57, 0xbe3c28d5, v46
	v_add_f32_e32 v28, v50, v28
	v_fma_f32 v50, 0x3f6eb680, v44, -v56
	v_fma_f32 v56, 0xbf7ba420, v43, -v48
	v_add_f32_e32 v40, v17, v40
	v_add_f32_e32 v51, v51, v18
	v_fmamk_f32 v17, v44, 0xbf7ba420, v57
	v_mul_f32_e32 v18, 0x3f2c7751, v47
	v_add_f32_e32 v31, v50, v31
	v_add_f32_e32 v50, v56, v22
	v_fma_f32 v22, 0xbf7ba420, v44, -v57
	v_mul_f32_e32 v56, 0x3f2c7751, v46
	v_add_f32_e32 v54, v17, v54
	v_fma_f32 v17, 0x3f3d2fb0, v43, -v18
	v_fmac_f32_e32 v48, 0xbf7ba420, v43
	v_add_f32_e32 v52, v22, v52
	v_mul_f32_e32 v22, 0xbf763a35, v47
	v_add_f32_e32 v20, v58, v20
	v_add_f32_e32 v47, v17, v23
	v_fma_f32 v17, 0x3f3d2fb0, v44, -v56
	v_add_f32_e32 v48, v48, v19
	v_fmamk_f32 v19, v44, 0x3f3d2fb0, v56
	v_mul_f32_e32 v23, 0xbf763a35, v46
	v_add_f32_e32 v57, v2, v0
	v_add_f32_e32 v56, v17, v29
	v_sub_f32_e32 v29, v1, v3
	v_sub_f32_e32 v58, v0, v2
	v_fmac_f32_e32 v18, 0x3f3d2fb0, v43
	v_add_f32_e32 v53, v19, v53
	v_fma_f32 v19, 0xbe8c1d8e, v43, -v22
	v_mul_f32_e32 v2, 0xbe3c28d5, v29
	v_fmac_f32_e32 v22, 0xbe8c1d8e, v43
	v_fma_f32 v0, 0xbe8c1d8e, v44, -v23
	v_add_f32_e32 v43, v3, v1
	v_mul_f32_e32 v1, 0xbe3c28d5, v58
	v_fma_f32 v3, 0xbf7ba420, v57, -v2
	v_add_f32_e32 v59, v22, v9
	v_add_f32_e32 v60, v0, v6
	v_mul_f32_e32 v9, 0x3eb8f4ab, v29
	v_fmamk_f32 v6, v43, 0xbf7ba420, v1
	v_add_f32_e32 v0, v3, v7
	v_fmac_f32_e32 v2, 0xbf7ba420, v57
	v_mul_f32_e32 v7, 0x3eb8f4ab, v58
	v_fmamk_f32 v17, v44, 0xbe8c1d8e, v23
	v_fma_f32 v3, 0xbf7ba420, v43, -v1
	v_add_f32_e32 v1, v6, v8
	v_fma_f32 v6, 0x3f6eb680, v57, -v9
	v_add_f32_e32 v2, v2, v10
	v_mul_f32_e32 v10, 0xbf06c442, v29
	v_fmamk_f32 v8, v43, 0x3f6eb680, v7
	v_add_f32_e32 v44, v17, v25
	v_add_f32_e32 v6, v6, v12
	v_fmac_f32_e32 v9, 0x3f6eb680, v57
	v_fma_f32 v12, 0x3f6eb680, v43, -v7
	v_fma_f32 v17, 0xbf59a7d5, v57, -v10
	v_add_f32_e32 v7, v8, v16
	v_mul_f32_e32 v16, 0xbf06c442, v58
	v_add_f32_e32 v8, v9, v11
	v_add_f32_e32 v9, v12, v13
	;; [unrolled: 1-line block ×3, first 2 shown]
	v_mul_f32_e32 v17, 0x3f2c7751, v29
	v_fmamk_f32 v12, v43, 0xbf59a7d5, v16
	v_fmac_f32_e32 v10, 0xbf59a7d5, v57
	v_fma_f32 v14, 0xbf59a7d5, v43, -v16
	v_mul_f32_e32 v16, 0x3f2c7751, v58
	v_add_f32_e32 v46, v18, v20
	v_fma_f32 v18, 0x3f3d2fb0, v57, -v17
	v_add_f32_e32 v13, v10, v30
	v_fmac_f32_e32 v17, 0x3f3d2fb0, v57
	v_fmamk_f32 v10, v43, 0x3f3d2fb0, v16
	v_add_f32_e32 v3, v3, v26
	v_add_f32_e32 v15, v18, v15
	v_fma_f32 v18, 0x3f3d2fb0, v43, -v16
	v_add_f32_e32 v17, v17, v28
	v_add_f32_e32 v16, v10, v24
	v_mul_f32_e32 v10, 0xbf4c4adb, v58
	v_mul_f32_e32 v24, 0x3f65296c, v58
	;; [unrolled: 1-line block ×3, first 2 shown]
	v_add_f32_e32 v14, v14, v27
	v_add_f32_e32 v12, v12, v21
	v_fmamk_f32 v20, v43, 0xbf1a4643, v10
	v_fma_f32 v10, 0xbf1a4643, v43, -v10
	v_fmamk_f32 v26, v43, 0x3ee437d1, v24
	v_fma_f32 v27, 0x3ee437d1, v43, -v24
	v_mul_f32_e32 v21, 0xbf4c4adb, v29
	v_mul_f32_e32 v25, 0x3f65296c, v29
	v_add_f32_e32 v22, v10, v31
	v_mul_f32_e32 v10, 0xbf763a35, v29
	v_fmamk_f32 v31, v43, 0xbe8c1d8e, v28
	v_add_f32_e32 v24, v26, v54
	v_add_f32_e32 v26, v27, v52
	;; [unrolled: 1-line block ×3, first 2 shown]
	v_fma_f32 v30, 0xbe8c1d8e, v57, -v10
	v_fmac_f32_e32 v10, 0xbe8c1d8e, v57
	v_mul_f32_e32 v39, 0x3f7ee86f, v58
	v_add_f32_e32 v55, v19, v55
	v_add_f32_e32 v20, v20, v40
	;; [unrolled: 1-line block ×3, first 2 shown]
	v_fma_f32 v30, 0xbe8c1d8e, v43, -v28
	v_add_f32_e32 v28, v31, v53
	v_mul_f32_e32 v31, 0x3f7ee86f, v29
	v_add_f32_e32 v29, v10, v46
	v_and_b32_e32 v10, 0xff, v32
	v_fmamk_f32 v46, v43, 0x3dbcf732, v39
	v_fma_f32 v19, 0xbf1a4643, v57, -v21
	v_fma_f32 v40, 0x3dbcf732, v57, -v31
	v_fmac_f32_e32 v31, 0x3dbcf732, v57
	v_mul_lo_u16 v10, 0xf1, v10
	v_fma_f32 v23, 0x3ee437d1, v57, -v25
	v_fma_f32 v47, 0x3dbcf732, v43, -v39
	v_add_f32_e32 v39, v40, v55
	v_add_f32_e32 v40, v46, v44
	v_lshrrev_b16 v10, 12, v10
	v_add_f32_e32 v43, v31, v59
	v_lshl_add_u32 v31, v32, 7, v45
	v_add_f32_e32 v19, v19, v49
	v_add_f32_e32 v23, v23, v50
	v_mul_lo_u16 v46, v10, 17
	s_barrier
	buffer_gl0_inv
	ds_write2_b64 v31, v[4:5], v[0:1] offset1:1
	ds_write2_b64 v31, v[6:7], v[11:12] offset0:2 offset1:3
	ds_write2_b64 v31, v[15:16], v[19:20] offset0:4 offset1:5
	;; [unrolled: 1-line block ×3, first 2 shown]
	v_sub_nc_u16 v11, v32, v46
	v_mov_b32_e32 v0, 7
	v_fmac_f32_e32 v25, 0x3ee437d1, v57
	v_fmac_f32_e32 v21, 0xbf1a4643, v57
	v_add_f32_e32 v44, v47, v60
	v_add_f32_e32 v30, v30, v56
	v_lshlrev_b32_sdwa v0, v0, v11 dst_sel:DWORD dst_unused:UNUSED_PAD src0_sel:DWORD src1_sel:BYTE_0
	v_add_f32_e32 v25, v25, v48
	v_add_f32_e32 v21, v21, v51
	ds_write2_b64 v31, v[39:40], v[43:44] offset0:8 offset1:9
	ds_write2_b64 v31, v[29:30], v[25:26] offset0:10 offset1:11
	;; [unrolled: 1-line block ×4, first 2 shown]
	ds_write_b64 v31, v[2:3] offset:128
	s_waitcnt lgkmcnt(0)
	s_barrier
	buffer_gl0_inv
	s_clause 0x7
	global_load_dwordx4 v[2:5], v0, s[8:9] offset:16
	global_load_dwordx4 v[6:9], v0, s[8:9] offset:32
	global_load_dwordx4 v[13:16], v0, s[8:9] offset:48
	global_load_dwordx4 v[17:20], v0, s[8:9]
	global_load_dwordx4 v[22:25], v0, s[8:9] offset:64
	global_load_dwordx4 v[26:29], v0, s[8:9] offset:80
	global_load_dwordx4 v[48:51], v0, s[8:9] offset:96
	global_load_dwordx4 v[71:74], v0, s[8:9] offset:112
	ds_read2_b64 v[56:59], v41 offset0:50 offset1:152
	v_add_nc_u32_e32 v0, 0xc00, v45
	v_lshl_add_u32 v47, v36, 3, 0
	v_lshl_add_u32 v46, v38, 3, 0
	ds_read2_b64 v[79:82], v37 offset0:150 offset1:252
	ds_read2_b64 v[65:68], v0 offset0:126 offset1:228
	v_add_nc_u32_e32 v0, 0x1400, v45
	ds_read_b64 v[30:31], v46
	ds_read2_b64 v[75:78], v0 offset0:74 offset1:176
	ds_read_b64 v[0:1], v47
	s_waitcnt vmcnt(7) lgkmcnt(5)
	v_mul_f32_e32 v12, v3, v57
	v_mul_f32_e32 v54, v3, v56
	;; [unrolled: 1-line block ×4, first 2 shown]
	s_waitcnt vmcnt(6) lgkmcnt(3)
	v_mul_f32_e32 v5, v66, v7
	v_fma_f32 v53, v2, v56, -v12
	v_fmac_f32_e32 v54, v2, v57
	v_fma_f32 v57, v58, v4, -v3
	ds_read_b64 v[2:3], v45
	v_mul_f32_e32 v62, v65, v7
	v_mul_f32_e32 v7, v68, v9
	;; [unrolled: 1-line block ×3, first 2 shown]
	v_fma_f32 v61, v65, v6, -v5
	v_fmac_f32_e32 v55, v59, v4
	s_waitcnt vmcnt(4) lgkmcnt(1)
	v_mul_f32_e32 v4, v18, v1
	v_fma_f32 v65, v67, v8, -v7
	v_fmac_f32_e32 v64, v68, v8
	v_mul_f32_e32 v8, v18, v0
	v_mul_f32_e32 v52, v20, v30
	v_fmac_f32_e32 v62, v66, v6
	v_mul_f32_e32 v6, v76, v14
	v_mul_f32_e32 v5, v75, v14
	v_fmac_f32_e32 v8, v17, v1
	v_mul_f32_e32 v9, v20, v31
	v_fma_f32 v14, v17, v0, -v4
	v_fmac_f32_e32 v52, v19, v31
	v_add_nc_u32_e32 v12, 0x2000, v45
	v_mul_f32_e32 v7, v78, v16
	s_waitcnt lgkmcnt(0)
	v_add_f32_e32 v1, v8, v3
	v_fma_f32 v30, v19, v30, -v9
	v_add_f32_e32 v0, v14, v2
	ds_read2_b64 v[83:86], v12 offset0:98 offset1:200
	v_mul_f32_e32 v4, v77, v16
	v_add_f32_e32 v1, v1, v52
	v_fmac_f32_e32 v5, v76, v13
	v_add_f32_e32 v0, v0, v30
	v_fma_f32 v67, v75, v13, -v6
	v_fma_f32 v6, v77, v15, -v7
	v_add_f32_e32 v1, v1, v54
	v_fmac_f32_e32 v4, v78, v15
	v_add_f32_e32 v0, v0, v53
	s_waitcnt vmcnt(3)
	v_mul_f32_e32 v20, v79, v23
	ds_read2_b64 v[75:78], v42 offset0:46 offset1:148
	v_add_f32_e32 v1, v1, v55
	v_mul_f32_e32 v7, v80, v23
	v_add_f32_e32 v0, v0, v57
	v_mul_f32_e32 v9, v82, v25
	v_mul_f32_e32 v21, v81, v25
	v_add_f32_e32 v1, v1, v62
	v_fmac_f32_e32 v20, v80, v22
	v_add_f32_e32 v0, v0, v61
	v_add_nc_u32_e32 v16, 0x2c00, v45
	v_fma_f32 v7, v79, v22, -v7
	v_add_f32_e32 v1, v1, v64
	v_fma_f32 v69, v81, v24, -v9
	v_add_f32_e32 v0, v0, v65
	v_fmac_f32_e32 v21, v82, v24
	s_waitcnt vmcnt(2) lgkmcnt(1)
	v_mul_f32_e32 v66, v83, v27
	v_add_f32_e32 v1, v1, v5
	ds_read2_b64 v[22:25], v16 offset0:122 offset1:224
	v_add_f32_e32 v0, v0, v67
	v_mul_f32_e32 v9, v84, v27
	v_mul_f32_e32 v70, v85, v29
	v_add_f32_e32 v1, v1, v4
	v_fmac_f32_e32 v66, v84, v26
	v_add_f32_e32 v0, v0, v6
	v_mul_f32_e32 v13, v86, v29
	v_fma_f32 v68, v83, v26, -v9
	v_add_f32_e32 v1, v1, v20
	s_waitcnt vmcnt(1) lgkmcnt(1)
	v_mul_f32_e32 v9, v76, v49
	v_add_f32_e32 v0, v0, v7
	v_fmac_f32_e32 v70, v86, v28
	v_mul_f32_e32 v60, v75, v49
	v_add_f32_e32 v1, v1, v21
	v_fma_f32 v63, v85, v28, -v13
	v_add_f32_e32 v0, v0, v69
	v_fma_f32 v59, v75, v48, -v9
	v_mul_f32_e32 v9, v78, v51
	v_add_f32_e32 v1, v1, v66
	v_mul_f32_e32 v51, v77, v51
	v_add_f32_e32 v0, v0, v68
	v_fmac_f32_e32 v60, v76, v48
	s_waitcnt vmcnt(0) lgkmcnt(0)
	v_mul_f32_e32 v13, v23, v72
	v_add_f32_e32 v1, v1, v70
	v_fmac_f32_e32 v51, v78, v50
	v_add_f32_e32 v0, v0, v63
	v_mul_f32_e32 v19, v22, v72
	v_fma_f32 v56, v77, v50, -v9
	v_add_f32_e32 v1, v1, v60
	v_fma_f32 v15, v22, v71, -v13
	v_add_f32_e32 v0, v0, v59
	v_mul_f32_e32 v9, v24, v74
	v_mul_f32_e32 v13, v25, v74
	v_fmac_f32_e32 v19, v23, v71
	v_add_f32_e32 v1, v1, v51
	v_add_f32_e32 v0, v0, v56
	v_fmac_f32_e32 v9, v25, v73
	v_fma_f32 v13, v24, v73, -v13
	v_add_f32_e32 v1, v1, v19
	v_add_f32_e32 v0, v0, v15
	v_sub_f32_e32 v17, v8, v9
	v_add_f32_e32 v8, v8, v9
	v_add_f32_e32 v18, v14, v13
	;; [unrolled: 1-line block ×3, first 2 shown]
	v_sub_f32_e32 v9, v14, v13
	v_add_f32_e32 v0, v0, v13
	v_mul_f32_e32 v13, 0xbf2c7751, v17
	v_mul_f32_e32 v26, 0xbf7ee86f, v17
	;; [unrolled: 1-line block ×5, first 2 shown]
	v_fma_f32 v23, 0x3f3d2fb0, v18, -v13
	v_fma_f32 v28, 0x3dbcf732, v18, -v26
	v_fmac_f32_e32 v26, 0x3dbcf732, v18
	v_fmamk_f32 v49, v8, 0x3ee437d1, v43
	v_fma_f32 v14, 0x3f6eb680, v18, -v22
	v_mul_f32_e32 v24, 0xbf65296c, v17
	v_mul_f32_e32 v27, 0xbf763a35, v17
	;; [unrolled: 1-line block ×8, first 2 shown]
	v_fmamk_f32 v74, v8, 0x3dbcf732, v48
	v_mul_f32_e32 v73, 0xbf4c4adb, v9
	v_mul_f32_e32 v75, 0xbf06c442, v9
	;; [unrolled: 1-line block ×3, first 2 shown]
	v_add_f32_e32 v79, v23, v2
	v_add_f32_e32 v23, v49, v3
	;; [unrolled: 1-line block ×3, first 2 shown]
	v_sub_f32_e32 v26, v52, v19
	v_fmac_f32_e32 v22, 0x3f6eb680, v18
	v_fmac_f32_e32 v13, 0x3f3d2fb0, v18
	v_fma_f32 v25, 0x3ee437d1, v18, -v24
	v_fmac_f32_e32 v24, 0x3ee437d1, v18
	v_fma_f32 v29, 0xbe8c1d8e, v18, -v27
	v_fmac_f32_e32 v27, 0xbe8c1d8e, v18
	v_fma_f32 v17, 0xbf1a4643, v18, -v31
	v_fmac_f32_e32 v31, 0xbf1a4643, v18
	v_fma_f32 v39, 0xbf59a7d5, v18, -v50
	v_fmac_f32_e32 v50, 0xbf59a7d5, v18
	v_fma_f32 v58, 0xbf7ba420, v18, -v72
	v_fmac_f32_e32 v72, 0xbf7ba420, v18
	v_fmamk_f32 v18, v8, 0x3f6eb680, v40
	v_fma_f32 v40, 0x3f6eb680, v8, -v40
	v_fmamk_f32 v44, v8, 0x3f3d2fb0, v42
	v_fma_f32 v42, 0x3f3d2fb0, v8, -v42
	v_fma_f32 v43, 0x3ee437d1, v8, -v43
	;; [unrolled: 1-line block ×3, first 2 shown]
	v_fmamk_f32 v77, v8, 0xbe8c1d8e, v71
	v_fma_f32 v80, 0xbe8c1d8e, v8, -v71
	v_fmamk_f32 v81, v8, 0xbf1a4643, v73
	v_fma_f32 v82, 0xbf1a4643, v8, -v73
	;; [unrolled: 2-line block ×4, first 2 shown]
	v_add_f32_e32 v87, v14, v2
	v_add_f32_e32 v8, v74, v3
	;; [unrolled: 1-line block ×3, first 2 shown]
	v_mul_f32_e32 v74, 0xbf2c7751, v26
	v_add_f32_e32 v9, v28, v2
	v_sub_f32_e32 v28, v30, v15
	v_add_f32_e32 v30, v50, v2
	v_add_f32_e32 v19, v52, v19
	v_fma_f32 v50, 0x3f3d2fb0, v14, -v74
	v_sub_f32_e32 v52, v54, v51
	v_add_f32_e32 v88, v18, v3
	v_add_f32_e32 v75, v13, v2
	;; [unrolled: 1-line block ×6, first 2 shown]
	v_mul_f32_e32 v77, 0xbf2c7751, v28
	v_add_f32_e32 v82, v50, v87
	v_add_f32_e32 v50, v53, v56
	v_mul_f32_e32 v81, 0xbf65296c, v52
	v_sub_f32_e32 v53, v53, v56
	v_sub_f32_e32 v56, v55, v60
	v_add_f32_e32 v71, v22, v2
	v_add_f32_e32 v73, v40, v3
	v_add_f32_e32 v78, v44, v3
	v_add_f32_e32 v22, v25, v2
	v_add_f32_e32 v25, v24, v2
	v_add_f32_e32 v24, v43, v3
	v_add_f32_e32 v44, v29, v2
	v_add_f32_e32 v40, v27, v2
	v_add_f32_e32 v29, v80, v3
	v_add_f32_e32 v27, v17, v2
	v_add_f32_e32 v17, v31, v2
	v_add_f32_e32 v43, v39, v2
	v_add_f32_e32 v39, v83, v3
	v_add_f32_e32 v15, v84, v3
	v_add_f32_e32 v31, v58, v2
	v_add_f32_e32 v58, v85, v3
	v_fmamk_f32 v80, v19, 0x3f3d2fb0, v77
	v_add_f32_e32 v51, v54, v51
	v_fma_f32 v83, 0x3ee437d1, v50, -v81
	v_mul_f32_e32 v84, 0xbf65296c, v53
	v_add_f32_e32 v54, v57, v59
	v_sub_f32_e32 v57, v57, v59
	v_mul_f32_e32 v85, 0xbf7ee86f, v56
	v_add_f32_e32 v80, v80, v88
	v_add_f32_e32 v59, v83, v82
	v_fmamk_f32 v82, v51, 0x3ee437d1, v84
	v_add_f32_e32 v55, v55, v60
	v_mul_f32_e32 v83, 0xbf7ee86f, v57
	v_fma_f32 v87, 0x3dbcf732, v54, -v85
	v_sub_f32_e32 v60, v62, v70
	v_add_f32_e32 v72, v72, v2
	v_add_f32_e32 v2, v82, v80
	v_fmamk_f32 v80, v55, 0x3dbcf732, v83
	v_add_f32_e32 v82, v87, v59
	v_add_f32_e32 v59, v61, v63
	v_mul_f32_e32 v87, 0xbf763a35, v60
	v_sub_f32_e32 v61, v61, v63
	v_sub_f32_e32 v63, v64, v66
	v_add_f32_e32 v2, v80, v2
	v_add_f32_e32 v70, v62, v70
	v_fma_f32 v80, 0xbe8c1d8e, v59, -v87
	v_add_f32_e32 v62, v65, v68
	v_mul_f32_e32 v89, 0xbf4c4adb, v63
	v_mul_f32_e32 v88, 0xbf763a35, v61
	v_sub_f32_e32 v65, v65, v68
	v_add_f32_e32 v82, v80, v82
	v_add_f32_e32 v64, v64, v66
	v_fma_f32 v66, 0xbf1a4643, v62, -v89
	v_add_f32_e32 v48, v48, v3
	v_fmamk_f32 v90, v70, 0xbe8c1d8e, v88
	v_mul_f32_e32 v91, 0xbf4c4adb, v65
	v_add_f32_e32 v80, v86, v3
	v_sub_f32_e32 v68, v5, v21
	v_add_f32_e32 v3, v66, v82
	v_add_f32_e32 v66, v67, v69
	v_sub_f32_e32 v67, v67, v69
	v_fmac_f32_e32 v74, 0x3f3d2fb0, v14
	v_fma_f32 v69, 0x3f3d2fb0, v19, -v77
	v_add_f32_e32 v2, v90, v2
	v_fmamk_f32 v82, v64, 0xbf1a4643, v91
	v_mul_f32_e32 v86, 0xbf06c442, v68
	v_add_f32_e32 v71, v74, v71
	v_add_f32_e32 v69, v69, v73
	v_fmac_f32_e32 v81, 0x3ee437d1, v50
	v_fma_f32 v73, 0x3ee437d1, v51, -v84
	v_add_f32_e32 v77, v5, v21
	v_fma_f32 v5, 0xbf59a7d5, v66, -v86
	v_mul_f32_e32 v21, 0xbf06c442, v67
	v_add_f32_e32 v2, v82, v2
	v_add_f32_e32 v71, v81, v71
	v_add_f32_e32 v81, v73, v69
	v_fmac_f32_e32 v85, 0x3dbcf732, v54
	v_fma_f32 v82, 0x3dbcf732, v55, -v83
	v_sub_f32_e32 v74, v4, v20
	v_sub_f32_e32 v73, v6, v7
	v_add_f32_e32 v3, v5, v3
	v_fmamk_f32 v5, v77, 0xbf59a7d5, v21
	v_add_f32_e32 v69, v4, v20
	v_add_f32_e32 v4, v85, v71
	;; [unrolled: 1-line block ×3, first 2 shown]
	v_fma_f32 v81, 0xbe8c1d8e, v70, -v88
	v_add_f32_e32 v71, v6, v7
	v_mul_f32_e32 v6, 0xbe3c28d5, v74
	v_mul_f32_e32 v7, 0xbe3c28d5, v73
	v_fmac_f32_e32 v87, 0xbe8c1d8e, v59
	v_add_f32_e32 v20, v81, v20
	v_fma_f32 v81, 0xbf1a4643, v64, -v91
	v_add_f32_e32 v5, v5, v2
	v_fma_f32 v2, 0xbf7ba420, v71, -v6
	v_fmamk_f32 v82, v69, 0xbf7ba420, v7
	v_add_f32_e32 v4, v87, v4
	v_fmac_f32_e32 v89, 0xbf1a4643, v62
	v_add_f32_e32 v20, v81, v20
	v_fma_f32 v21, 0xbf59a7d5, v77, -v21
	v_add_f32_e32 v2, v2, v3
	v_add_f32_e32 v3, v82, v5
	v_mul_f32_e32 v5, 0xbf7ee86f, v26
	v_mul_f32_e32 v81, 0xbf7ee86f, v28
	v_add_f32_e32 v4, v89, v4
	v_fmac_f32_e32 v86, 0xbf59a7d5, v66
	v_add_f32_e32 v21, v21, v20
	v_fma_f32 v20, 0x3dbcf732, v14, -v5
	v_mul_f32_e32 v82, 0xbf4c4adb, v52
	v_fmamk_f32 v83, v19, 0x3dbcf732, v81
	v_mul_f32_e32 v84, 0xbf4c4adb, v53
	v_add_f32_e32 v4, v86, v4
	v_add_f32_e32 v20, v20, v79
	v_fma_f32 v79, 0xbf1a4643, v50, -v82
	v_mul_f32_e32 v85, 0xbe3c28d5, v56
	v_add_f32_e32 v78, v83, v78
	v_fmamk_f32 v83, v51, 0xbf1a4643, v84
	v_mul_f32_e32 v86, 0xbe3c28d5, v57
	v_fmac_f32_e32 v6, 0xbf7ba420, v71
	v_add_f32_e32 v20, v79, v20
	v_fma_f32 v79, 0xbf7ba420, v54, -v85
	v_add_f32_e32 v78, v83, v78
	v_fmamk_f32 v83, v55, 0xbf7ba420, v86
	v_mul_f32_e32 v88, 0x3f06c442, v61
	v_mul_f32_e32 v87, 0x3f06c442, v60
	v_add_f32_e32 v79, v79, v20
	v_add_f32_e32 v20, v6, v4
	;; [unrolled: 1-line block ×3, first 2 shown]
	v_fmamk_f32 v6, v70, 0xbf59a7d5, v88
	v_fma_f32 v7, 0xbf7ba420, v69, -v7
	v_fma_f32 v89, 0xbf59a7d5, v59, -v87
	v_mul_f32_e32 v78, 0x3f763a35, v63
	v_fmac_f32_e32 v5, 0x3dbcf732, v14
	v_add_f32_e32 v4, v6, v4
	v_fma_f32 v6, 0x3dbcf732, v19, -v81
	v_add_f32_e32 v21, v7, v21
	v_add_f32_e32 v7, v89, v79
	v_fma_f32 v81, 0xbe8c1d8e, v62, -v78
	v_mul_f32_e32 v89, 0x3f65296c, v68
	v_add_f32_e32 v5, v5, v75
	v_add_f32_e32 v6, v6, v76
	v_fmac_f32_e32 v82, 0xbf1a4643, v50
	v_fma_f32 v75, 0xbf1a4643, v51, -v84
	v_mul_f32_e32 v79, 0x3f763a35, v65
	v_add_f32_e32 v7, v81, v7
	v_fma_f32 v76, 0x3ee437d1, v66, -v89
	v_add_f32_e32 v5, v82, v5
	v_add_f32_e32 v6, v75, v6
	v_fmac_f32_e32 v85, 0xbf7ba420, v54
	v_fma_f32 v75, 0xbf7ba420, v55, -v86
	v_fmamk_f32 v83, v64, 0xbe8c1d8e, v79
	v_add_f32_e32 v7, v76, v7
	v_mul_f32_e32 v76, 0x3f65296c, v67
	v_mul_f32_e32 v81, 0x3eb8f4ab, v74
	v_add_f32_e32 v5, v85, v5
	v_add_f32_e32 v6, v75, v6
	v_fmac_f32_e32 v87, 0xbf59a7d5, v59
	v_fma_f32 v75, 0xbf59a7d5, v70, -v88
	v_add_f32_e32 v4, v83, v4
	v_fmamk_f32 v82, v77, 0x3ee437d1, v76
	v_fma_f32 v83, 0x3f6eb680, v71, -v81
	v_mul_f32_e32 v84, 0x3eb8f4ab, v73
	v_add_f32_e32 v5, v87, v5
	v_add_f32_e32 v6, v75, v6
	v_fmac_f32_e32 v78, 0xbe8c1d8e, v62
	v_fma_f32 v75, 0xbe8c1d8e, v64, -v79
	v_add_f32_e32 v79, v82, v4
	v_add_f32_e32 v4, v83, v7
	v_fmamk_f32 v7, v69, 0x3f6eb680, v84
	v_add_f32_e32 v78, v78, v5
	v_add_f32_e32 v6, v75, v6
	v_fmac_f32_e32 v89, 0x3ee437d1, v66
	v_fma_f32 v75, 0x3ee437d1, v77, -v76
	v_mul_f32_e32 v76, 0xbf4c4adb, v26
	v_mul_f32_e32 v82, 0xbf4c4adb, v28
	v_add_f32_e32 v5, v7, v79
	v_add_f32_e32 v7, v89, v78
	;; [unrolled: 1-line block ×3, first 2 shown]
	v_fma_f32 v75, 0xbf1a4643, v14, -v76
	v_fmamk_f32 v78, v19, 0xbf1a4643, v82
	v_mul_f32_e32 v79, 0x3e3c28d5, v52
	v_mul_f32_e32 v83, 0x3e3c28d5, v53
	v_fmac_f32_e32 v81, 0x3f6eb680, v71
	v_add_f32_e32 v22, v75, v22
	v_add_f32_e32 v23, v78, v23
	v_fma_f32 v75, 0xbf7ba420, v50, -v79
	v_fmamk_f32 v78, v51, 0xbf7ba420, v83
	v_mul_f32_e32 v85, 0x3f763a35, v56
	v_mul_f32_e32 v86, 0x3f763a35, v57
	;; [unrolled: 1-line block ×3, first 2 shown]
	v_add_f32_e32 v75, v75, v22
	v_add_f32_e32 v23, v78, v23
	v_fma_f32 v78, 0xbe8c1d8e, v54, -v85
	v_fmamk_f32 v87, v55, 0xbe8c1d8e, v86
	v_add_f32_e32 v22, v81, v7
	v_mul_f32_e32 v7, 0x3f2c7751, v61
	v_fma_f32 v84, 0x3f6eb680, v69, -v84
	v_add_f32_e32 v75, v78, v75
	v_add_f32_e32 v78, v87, v23
	v_fma_f32 v81, 0x3f3d2fb0, v59, -v88
	v_mul_f32_e32 v87, 0xbeb8f4ab, v63
	v_fmamk_f32 v89, v70, 0x3f3d2fb0, v7
	v_mul_f32_e32 v90, 0xbeb8f4ab, v65
	v_add_f32_e32 v23, v84, v6
	v_add_f32_e32 v6, v81, v75
	v_fma_f32 v75, 0x3f6eb680, v62, -v87
	v_add_f32_e32 v78, v89, v78
	v_fmamk_f32 v81, v64, 0x3f6eb680, v90
	v_mul_f32_e32 v84, 0xbf7ee86f, v68
	v_fmac_f32_e32 v76, 0xbf1a4643, v14
	v_add_f32_e32 v6, v75, v6
	v_fma_f32 v82, 0xbf1a4643, v19, -v82
	v_add_f32_e32 v75, v81, v78
	v_fma_f32 v78, 0x3dbcf732, v66, -v84
	v_mul_f32_e32 v81, 0xbf7ee86f, v67
	v_add_f32_e32 v25, v76, v25
	v_fmac_f32_e32 v79, 0xbf7ba420, v50
	v_add_f32_e32 v24, v82, v24
	v_add_f32_e32 v6, v78, v6
	v_fmamk_f32 v76, v77, 0x3dbcf732, v81
	v_fma_f32 v78, 0xbf7ba420, v51, -v83
	v_add_f32_e32 v25, v79, v25
	v_fmac_f32_e32 v85, 0xbe8c1d8e, v54
	v_fmac_f32_e32 v88, 0x3f3d2fb0, v59
	v_add_f32_e32 v75, v76, v75
	v_mul_f32_e32 v76, 0xbf06c442, v74
	v_add_f32_e32 v24, v78, v24
	v_fma_f32 v78, 0xbe8c1d8e, v55, -v86
	v_add_f32_e32 v25, v85, v25
	v_mul_f32_e32 v82, 0xbf06c442, v73
	v_fma_f32 v79, 0xbf59a7d5, v71, -v76
	v_fma_f32 v7, 0x3f3d2fb0, v70, -v7
	v_add_f32_e32 v24, v78, v24
	v_add_f32_e32 v25, v88, v25
	v_fmac_f32_e32 v87, 0x3f6eb680, v62
	v_add_f32_e32 v6, v79, v6
	v_fmamk_f32 v78, v69, 0xbf59a7d5, v82
	v_add_f32_e32 v24, v7, v24
	v_fma_f32 v79, 0x3f6eb680, v64, -v90
	v_mul_f32_e32 v83, 0xbe3c28d5, v26
	v_add_f32_e32 v25, v87, v25
	v_fmac_f32_e32 v84, 0x3dbcf732, v66
	v_add_f32_e32 v7, v78, v75
	v_add_f32_e32 v24, v79, v24
	v_fma_f32 v75, 0x3dbcf732, v77, -v81
	v_fma_f32 v78, 0xbf7ba420, v14, -v83
	v_mul_f32_e32 v79, 0xbe3c28d5, v28
	v_mul_f32_e32 v81, 0x3f763a35, v52
	v_add_f32_e32 v25, v84, v25
	v_add_f32_e32 v75, v75, v24
	;; [unrolled: 1-line block ×3, first 2 shown]
	v_fmamk_f32 v24, v19, 0xbf7ba420, v79
	v_fma_f32 v78, 0xbe8c1d8e, v50, -v81
	v_mul_f32_e32 v84, 0x3f763a35, v53
	v_mul_f32_e32 v85, 0x3eb8f4ab, v56
	v_fmac_f32_e32 v76, 0xbf59a7d5, v71
	v_add_f32_e32 v8, v24, v8
	v_add_f32_e32 v9, v78, v9
	v_fmamk_f32 v78, v51, 0xbe8c1d8e, v84
	v_fma_f32 v86, 0x3f6eb680, v54, -v85
	v_mul_f32_e32 v87, 0x3eb8f4ab, v57
	v_mul_f32_e32 v88, 0xbf65296c, v60
	v_fma_f32 v82, 0xbf59a7d5, v69, -v82
	v_add_f32_e32 v24, v76, v25
	v_add_f32_e32 v8, v78, v8
	;; [unrolled: 1-line block ×3, first 2 shown]
	v_fmamk_f32 v76, v55, 0x3f6eb680, v87
	v_fma_f32 v78, 0x3ee437d1, v59, -v88
	v_mul_f32_e32 v86, 0xbf65296c, v61
	v_mul_f32_e32 v89, 0xbf06c442, v63
	v_add_f32_e32 v25, v82, v75
	v_add_f32_e32 v8, v76, v8
	;; [unrolled: 1-line block ×3, first 2 shown]
	v_fmamk_f32 v75, v70, 0x3ee437d1, v86
	v_fma_f32 v76, 0xbf59a7d5, v62, -v89
	v_mul_f32_e32 v78, 0xbf06c442, v65
	v_mul_f32_e32 v82, 0x3f4c4adb, v68
	v_mul_f32_e32 v90, 0x3f4c4adb, v67
	v_add_f32_e32 v8, v75, v8
	v_add_f32_e32 v9, v76, v9
	v_fmamk_f32 v75, v64, 0xbf59a7d5, v78
	v_fma_f32 v76, 0xbf1a4643, v66, -v82
	v_mul_f32_e32 v91, 0x3f2c7751, v73
	v_fmac_f32_e32 v83, 0xbf7ba420, v14
	v_fmac_f32_e32 v81, 0xbe8c1d8e, v50
	v_add_f32_e32 v8, v75, v8
	v_add_f32_e32 v9, v76, v9
	v_fmamk_f32 v75, v77, 0xbf1a4643, v90
	v_mul_f32_e32 v76, 0x3f2c7751, v74
	v_add_f32_e32 v49, v83, v49
	v_fmac_f32_e32 v85, 0x3f6eb680, v54
	v_fmac_f32_e32 v88, 0x3ee437d1, v59
	v_add_f32_e32 v75, v75, v8
	v_fma_f32 v8, 0x3f3d2fb0, v71, -v76
	v_add_f32_e32 v49, v81, v49
	v_fmac_f32_e32 v89, 0xbf59a7d5, v62
	v_fmac_f32_e32 v82, 0xbf1a4643, v66
	;; [unrolled: 1-line block ×3, first 2 shown]
	v_add_f32_e32 v8, v8, v9
	v_fmamk_f32 v9, v69, 0x3f3d2fb0, v91
	v_add_f32_e32 v49, v85, v49
	s_barrier
	buffer_gl0_inv
	v_add_f32_e32 v9, v9, v75
	v_fma_f32 v75, 0xbf7ba420, v19, -v79
	v_mul_f32_e32 v79, 0x3f06c442, v26
	v_add_f32_e32 v49, v88, v49
	v_add_f32_e32 v48, v75, v48
	v_fma_f32 v75, 0xbf59a7d5, v14, -v79
	v_fmac_f32_e32 v79, 0xbf59a7d5, v14
	v_add_f32_e32 v49, v89, v49
	v_add_f32_e32 v44, v75, v44
	v_mul_f32_e32 v75, 0x3f06c442, v28
	v_add_f32_e32 v40, v79, v40
	v_mul_f32_e32 v79, 0x3f763a35, v26
	v_add_f32_e32 v49, v82, v49
	v_fmamk_f32 v83, v19, 0xbf59a7d5, v75
	v_fma_f32 v75, 0xbf59a7d5, v19, -v75
	v_add_f32_e32 v42, v83, v42
	v_add_f32_e32 v29, v75, v29
	v_fma_f32 v75, 0xbe8c1d8e, v14, -v79
	v_fmac_f32_e32 v79, 0xbe8c1d8e, v14
	v_add_f32_e32 v27, v75, v27
	v_mul_f32_e32 v75, 0x3f763a35, v28
	v_add_f32_e32 v17, v79, v17
	v_mul_f32_e32 v79, 0x3f65296c, v26
	v_mul_f32_e32 v26, 0x3eb8f4ab, v26
	v_fmamk_f32 v83, v19, 0xbe8c1d8e, v75
	v_fma_f32 v75, 0xbe8c1d8e, v19, -v75
	v_add_f32_e32 v18, v83, v18
	v_add_f32_e32 v13, v75, v13
	v_fma_f32 v75, 0x3ee437d1, v14, -v79
	v_fmac_f32_e32 v79, 0x3ee437d1, v14
	v_add_f32_e32 v43, v75, v43
	v_mul_f32_e32 v75, 0x3f65296c, v28
	v_mul_f32_e32 v28, 0x3eb8f4ab, v28
	v_add_f32_e32 v30, v79, v30
	v_fma_f32 v79, 0x3f6eb680, v14, -v26
	v_fmac_f32_e32 v26, 0x3f6eb680, v14
	v_fmamk_f32 v83, v19, 0x3ee437d1, v75
	v_fma_f32 v75, 0x3ee437d1, v19, -v75
	v_fmamk_f32 v14, v19, 0x3f6eb680, v28
	v_fma_f32 v19, 0x3f6eb680, v19, -v28
	v_add_f32_e32 v28, v79, v31
	v_mul_f32_e32 v31, 0x3f2c7751, v52
	v_add_f32_e32 v15, v75, v15
	v_add_f32_e32 v14, v14, v58
	;; [unrolled: 1-line block ×3, first 2 shown]
	v_fma_f32 v58, 0xbe8c1d8e, v51, -v84
	v_fma_f32 v72, 0x3f3d2fb0, v50, -v31
	v_mul_f32_e32 v75, 0x3f2c7751, v53
	v_add_f32_e32 v19, v19, v80
	v_fmac_f32_e32 v31, 0x3f3d2fb0, v50
	v_add_f32_e32 v48, v58, v48
	v_mul_f32_e32 v58, 0xbeb8f4ab, v52
	v_add_f32_e32 v44, v72, v44
	v_fmamk_f32 v72, v51, 0x3f3d2fb0, v75
	v_mul_f32_e32 v80, 0xbeb8f4ab, v53
	v_add_f32_e32 v31, v31, v40
	v_fma_f32 v79, 0x3f6eb680, v50, -v58
	v_fmac_f32_e32 v58, 0x3f6eb680, v50
	v_add_f32_e32 v42, v72, v42
	v_fmamk_f32 v40, v51, 0x3f6eb680, v80
	v_mul_f32_e32 v72, 0xbf7ee86f, v52
	v_add_f32_e32 v27, v79, v27
	v_mul_f32_e32 v79, 0xbf7ee86f, v53
	v_add_f32_e32 v39, v83, v39
	v_add_f32_e32 v18, v40, v18
	v_fma_f32 v40, 0x3dbcf732, v50, -v72
	v_add_f32_e32 v17, v58, v17
	v_fmamk_f32 v58, v51, 0x3dbcf732, v79
	v_fma_f32 v75, 0x3f3d2fb0, v51, -v75
	v_fmac_f32_e32 v72, 0x3dbcf732, v50
	v_add_f32_e32 v40, v40, v43
	v_mul_f32_e32 v43, 0xbf06c442, v52
	v_mul_f32_e32 v52, 0xbf06c442, v53
	v_add_f32_e32 v39, v58, v39
	v_add_f32_e32 v29, v75, v29
	v_fma_f32 v75, 0x3f6eb680, v51, -v80
	v_fma_f32 v58, 0xbf59a7d5, v50, -v43
	v_fmac_f32_e32 v43, 0xbf59a7d5, v50
	v_add_f32_e32 v30, v72, v30
	v_fma_f32 v53, 0x3dbcf732, v51, -v79
	v_fmamk_f32 v72, v51, 0xbf59a7d5, v52
	v_fma_f32 v50, 0xbf59a7d5, v51, -v52
	v_mul_f32_e32 v51, 0xbf65296c, v56
	v_add_f32_e32 v26, v43, v26
	v_fma_f32 v43, 0x3f6eb680, v55, -v87
	v_mul_f32_e32 v52, 0xbf65296c, v57
	v_add_f32_e32 v19, v50, v19
	v_fma_f32 v50, 0x3ee437d1, v54, -v51
	v_add_f32_e32 v15, v53, v15
	v_add_f32_e32 v43, v43, v48
	v_mul_f32_e32 v48, 0xbf06c442, v56
	v_add_f32_e32 v28, v58, v28
	v_add_f32_e32 v44, v50, v44
	v_fmamk_f32 v50, v55, 0x3ee437d1, v52
	v_fmac_f32_e32 v51, 0x3ee437d1, v54
	v_fma_f32 v53, 0xbf59a7d5, v54, -v48
	v_mul_f32_e32 v58, 0xbf06c442, v57
	v_fma_f32 v52, 0x3ee437d1, v55, -v52
	v_add_f32_e32 v42, v50, v42
	v_add_f32_e32 v31, v51, v31
	;; [unrolled: 1-line block ×3, first 2 shown]
	v_fmamk_f32 v50, v55, 0xbf59a7d5, v58
	v_mul_f32_e32 v51, 0x3f4c4adb, v56
	v_fmac_f32_e32 v48, 0xbf59a7d5, v54
	v_mul_f32_e32 v53, 0x3f4c4adb, v57
	v_add_f32_e32 v13, v75, v13
	v_add_f32_e32 v29, v52, v29
	v_fma_f32 v52, 0xbf59a7d5, v55, -v58
	v_add_f32_e32 v18, v50, v18
	v_fma_f32 v50, 0xbf1a4643, v54, -v51
	v_add_f32_e32 v17, v48, v17
	v_fmamk_f32 v48, v55, 0xbf1a4643, v53
	v_add_f32_e32 v13, v52, v13
	v_fmac_f32_e32 v51, 0xbf1a4643, v54
	v_add_f32_e32 v40, v50, v40
	v_mul_f32_e32 v50, 0x3f2c7751, v56
	v_mul_f32_e32 v52, 0x3f2c7751, v57
	v_add_f32_e32 v39, v48, v39
	v_fma_f32 v48, 0xbf1a4643, v55, -v53
	v_add_f32_e32 v30, v51, v30
	v_fma_f32 v51, 0x3f3d2fb0, v54, -v50
	v_fmamk_f32 v53, v55, 0x3f3d2fb0, v52
	v_fmac_f32_e32 v50, 0x3f3d2fb0, v54
	v_fma_f32 v52, 0x3f3d2fb0, v55, -v52
	v_add_f32_e32 v15, v48, v15
	v_mul_f32_e32 v48, 0xbe3c28d5, v60
	v_add_f32_e32 v28, v51, v28
	v_add_f32_e32 v26, v50, v26
	v_fma_f32 v50, 0x3ee437d1, v70, -v86
	v_add_f32_e32 v19, v52, v19
	v_fma_f32 v51, 0xbf7ba420, v59, -v48
	v_mul_f32_e32 v52, 0xbe3c28d5, v61
	v_add_f32_e32 v14, v72, v14
	v_add_f32_e32 v43, v50, v43
	v_mul_f32_e32 v50, 0x3f7ee86f, v60
	v_add_f32_e32 v44, v51, v44
	v_fmamk_f32 v51, v70, 0xbf7ba420, v52
	v_fmac_f32_e32 v48, 0xbf7ba420, v59
	v_mul_f32_e32 v54, 0x3f7ee86f, v61
	v_add_f32_e32 v14, v53, v14
	v_fma_f32 v53, 0x3dbcf732, v59, -v50
	v_add_f32_e32 v42, v51, v42
	v_add_f32_e32 v31, v48, v31
	v_fmamk_f32 v48, v70, 0x3dbcf732, v54
	v_mul_f32_e32 v51, 0xbeb8f4ab, v60
	v_fma_f32 v52, 0xbf7ba420, v70, -v52
	v_add_f32_e32 v27, v53, v27
	v_fmac_f32_e32 v50, 0x3dbcf732, v59
	v_mul_f32_e32 v53, 0xbeb8f4ab, v61
	v_add_f32_e32 v18, v48, v18
	v_fma_f32 v48, 0x3f6eb680, v59, -v51
	v_add_f32_e32 v29, v52, v29
	v_fma_f32 v52, 0x3dbcf732, v70, -v54
	v_add_f32_e32 v17, v50, v17
	v_fmamk_f32 v50, v70, 0x3f6eb680, v53
	v_fmac_f32_e32 v51, 0x3f6eb680, v59
	v_add_f32_e32 v40, v48, v40
	v_mul_f32_e32 v48, 0xbf4c4adb, v60
	v_add_f32_e32 v13, v52, v13
	v_mul_f32_e32 v52, 0xbf4c4adb, v61
	v_add_f32_e32 v39, v50, v39
	v_add_f32_e32 v30, v51, v30
	v_fma_f32 v50, 0x3f6eb680, v70, -v53
	v_fma_f32 v51, 0xbf1a4643, v59, -v48
	v_fmac_f32_e32 v48, 0xbf1a4643, v59
	v_fmamk_f32 v53, v70, 0xbf1a4643, v52
	v_fma_f32 v52, 0xbf1a4643, v70, -v52
	v_add_f32_e32 v15, v50, v15
	v_mul_f32_e32 v50, 0x3f7ee86f, v63
	v_add_f32_e32 v26, v48, v26
	v_fma_f32 v48, 0xbf59a7d5, v64, -v78
	v_add_f32_e32 v28, v51, v28
	v_add_f32_e32 v19, v52, v19
	v_fma_f32 v51, 0x3dbcf732, v62, -v50
	v_mul_f32_e32 v52, 0x3f7ee86f, v65
	v_add_f32_e32 v43, v48, v43
	v_mul_f32_e32 v48, 0xbf2c7751, v63
	v_add_f32_e32 v14, v53, v14
	v_add_f32_e32 v44, v51, v44
	v_fmamk_f32 v51, v64, 0x3dbcf732, v52
	v_fmac_f32_e32 v50, 0x3dbcf732, v62
	v_fma_f32 v53, 0x3f3d2fb0, v62, -v48
	v_mul_f32_e32 v54, 0xbf2c7751, v65
	v_fma_f32 v52, 0x3dbcf732, v64, -v52
	v_add_f32_e32 v42, v51, v42
	v_add_f32_e32 v31, v50, v31
	;; [unrolled: 1-line block ×3, first 2 shown]
	v_fmamk_f32 v50, v64, 0x3f3d2fb0, v54
	v_mul_f32_e32 v51, 0xbe3c28d5, v63
	v_fmac_f32_e32 v48, 0x3f3d2fb0, v62
	v_mul_f32_e32 v53, 0xbe3c28d5, v65
	v_add_f32_e32 v29, v52, v29
	v_fma_f32 v52, 0x3f3d2fb0, v64, -v54
	v_add_f32_e32 v18, v50, v18
	v_fma_f32 v50, 0xbf7ba420, v62, -v51
	v_add_f32_e32 v17, v48, v17
	v_fmamk_f32 v48, v64, 0xbf7ba420, v53
	v_add_f32_e32 v13, v52, v13
	v_fmac_f32_e32 v51, 0xbf7ba420, v62
	v_add_f32_e32 v40, v50, v40
	v_mul_f32_e32 v50, 0x3f65296c, v63
	v_mul_f32_e32 v52, 0x3f65296c, v65
	v_add_f32_e32 v39, v48, v39
	v_fma_f32 v48, 0xbf7ba420, v64, -v53
	v_add_f32_e32 v30, v51, v30
	v_fma_f32 v51, 0x3ee437d1, v62, -v50
	v_fmamk_f32 v53, v64, 0x3ee437d1, v52
	v_fmac_f32_e32 v50, 0x3ee437d1, v62
	v_fma_f32 v52, 0x3ee437d1, v64, -v52
	v_add_f32_e32 v15, v48, v15
	v_mul_f32_e32 v48, 0xbeb8f4ab, v68
	v_add_f32_e32 v28, v51, v28
	v_add_f32_e32 v26, v50, v26
	v_fma_f32 v50, 0xbf1a4643, v77, -v90
	v_add_f32_e32 v19, v52, v19
	v_fma_f32 v51, 0x3f6eb680, v66, -v48
	v_mul_f32_e32 v52, 0xbeb8f4ab, v67
	v_fmac_f32_e32 v48, 0x3f6eb680, v66
	v_add_f32_e32 v43, v50, v43
	v_mul_f32_e32 v50, 0xbe3c28d5, v68
	v_add_f32_e32 v44, v51, v44
	v_fmamk_f32 v51, v77, 0x3f6eb680, v52
	v_fma_f32 v52, 0x3f6eb680, v77, -v52
	v_add_f32_e32 v14, v53, v14
	v_fma_f32 v53, 0xbf7ba420, v66, -v50
	v_add_f32_e32 v31, v48, v31
	v_fmac_f32_e32 v50, 0xbf7ba420, v66
	v_add_f32_e32 v48, v52, v29
	v_mul_f32_e32 v29, 0x3f2c7751, v68
	v_mul_f32_e32 v54, 0xbe3c28d5, v67
	v_add_f32_e32 v42, v51, v42
	v_add_f32_e32 v51, v53, v27
	v_mul_f32_e32 v53, 0x3f2c7751, v67
	v_add_f32_e32 v50, v50, v17
	v_fma_f32 v17, 0x3f3d2fb0, v66, -v29
	v_fmamk_f32 v27, v77, 0xbf7ba420, v54
	v_fma_f32 v52, 0xbf7ba420, v77, -v54
	v_fmac_f32_e32 v29, 0x3f3d2fb0, v66
	v_add_f32_e32 v40, v17, v40
	v_fma_f32 v17, 0x3f3d2fb0, v77, -v53
	v_add_f32_e32 v18, v27, v18
	v_add_f32_e32 v52, v52, v13
	v_fmamk_f32 v13, v77, 0x3f3d2fb0, v53
	v_mul_f32_e32 v27, 0xbf763a35, v68
	v_add_f32_e32 v15, v17, v15
	v_mul_f32_e32 v17, 0xbf763a35, v67
	v_add_f32_e32 v54, v29, v30
	v_add_f32_e32 v53, v13, v39
	v_fma_f32 v13, 0xbe8c1d8e, v66, -v27
	v_mul_f32_e32 v30, 0xbf4c4adb, v74
	v_fmamk_f32 v39, v77, 0xbe8c1d8e, v17
	v_fmac_f32_e32 v27, 0xbe8c1d8e, v66
	v_fma_f32 v17, 0xbe8c1d8e, v77, -v17
	v_add_f32_e32 v55, v13, v28
	v_fma_f32 v13, 0x3f3d2fb0, v69, -v91
	v_add_f32_e32 v28, v76, v49
	v_mul_f32_e32 v49, 0xbf4c4adb, v73
	v_add_f32_e32 v56, v39, v14
	v_mul_f32_e32 v39, 0x3f65296c, v74
	v_add_f32_e32 v29, v13, v43
	v_fma_f32 v13, 0xbf1a4643, v71, -v30
	v_fmamk_f32 v14, v69, 0xbf1a4643, v49
	v_add_f32_e32 v57, v27, v26
	v_fma_f32 v43, 0x3ee437d1, v71, -v39
	v_fmac_f32_e32 v30, 0xbf1a4643, v71
	v_add_f32_e32 v13, v13, v44
	v_add_f32_e32 v14, v14, v42
	v_fma_f32 v27, 0xbf1a4643, v69, -v49
	v_mul_f32_e32 v42, 0x3f65296c, v73
	v_add_f32_e32 v19, v17, v19
	v_add_f32_e32 v17, v43, v51
	v_mul_f32_e32 v43, 0xbf763a35, v74
	v_mul_f32_e32 v44, 0xbf763a35, v73
	v_add_f32_e32 v26, v30, v31
	v_add_f32_e32 v27, v27, v48
	v_fmamk_f32 v30, v69, 0x3ee437d1, v42
	v_fmac_f32_e32 v39, 0x3ee437d1, v71
	v_fma_f32 v31, 0x3ee437d1, v69, -v42
	v_fma_f32 v42, 0xbe8c1d8e, v71, -v43
	v_fmamk_f32 v48, v69, 0xbe8c1d8e, v44
	v_fmac_f32_e32 v43, 0xbe8c1d8e, v71
	v_fma_f32 v44, 0xbe8c1d8e, v69, -v44
	v_add_f32_e32 v18, v30, v18
	v_add_f32_e32 v30, v39, v50
	;; [unrolled: 1-line block ×5, first 2 shown]
	v_mov_b32_e32 v15, 0x908
	v_mov_b32_e32 v44, 3
	v_add_f32_e32 v40, v48, v53
	v_mul_f32_e32 v48, 0x3f7ee86f, v74
	v_mul_f32_e32 v49, 0x3f7ee86f, v73
	v_mul_u32_u24_sdwa v15, v10, v15 dst_sel:DWORD dst_unused:UNUSED_PAD src0_sel:WORD_0 src1_sel:DWORD
	v_lshlrev_b32_sdwa v44, v44, v11 dst_sel:DWORD dst_unused:UNUSED_PAD src0_sel:DWORD src1_sel:BYTE_0
	v_add_f32_e32 v31, v31, v52
	v_fma_f32 v50, 0x3dbcf732, v71, -v48
	v_fmamk_f32 v51, v69, 0x3dbcf732, v49
	v_fmac_f32_e32 v48, 0x3dbcf732, v71
	v_fma_f32 v49, 0x3dbcf732, v69, -v49
	v_add3_u32 v15, 0, v15, v44
	v_add_f32_e32 v10, v50, v55
	v_add_f32_e32 v11, v51, v56
	v_add_f32_e32 v48, v48, v57
	v_add_f32_e32 v49, v49, v19
	ds_write2_b64 v15, v[0:1], v[2:3] offset1:17
	ds_write2_b64 v15, v[4:5], v[6:7] offset0:34 offset1:51
	ds_write2_b64 v15, v[8:9], v[13:14] offset0:68 offset1:85
	;; [unrolled: 1-line block ×7, first 2 shown]
	ds_write_b64 v15, v[20:21] offset:2176
	s_waitcnt lgkmcnt(0)
	s_barrier
	buffer_gl0_inv
	ds_read2_b64 v[0:3], v41 offset0:33 offset1:135
	ds_read2_b64 v[4:7], v33 offset0:66 offset1:168
	ds_read2_b64 v[8:11], v37 offset0:99 offset1:201
	ds_read2_b64 v[12:15], v12 offset0:132 offset1:234
	ds_read2_b64 v[16:19], v16 offset0:37 offset1:139
	ds_read_b64 v[41:42], v45
	ds_read_b64 v[39:40], v47
                                        ; implicit-def: $vgpr31
	s_and_saveexec_b32 s1, s0
	s_cbranch_execz .LBB0_15
; %bb.14:
	ds_read_b64 v[26:27], v46
	ds_read_b64 v[28:29], v45 offset:3944
	ds_read_b64 v[24:25], v45 offset:6256
	;; [unrolled: 1-line block ×5, first 2 shown]
.LBB0_15:
	s_or_b32 exec_lo, exec_lo, s1
	v_mul_u32_u24_e32 v33, 5, v32
	v_mov_b32_e32 v44, 0
	v_mul_i32_i24_e32 v43, 5, v36
	v_lshlrev_b32_e32 v33, 3, v33
	v_lshlrev_b64 v[52:53], 3, v[43:44]
	v_add_co_u32 v33, s1, s8, v33
	v_add_co_ci_u32_e64 v37, null, s9, 0, s1
	v_add_co_u32 v48, s1, 0x800, v33
	v_add_co_ci_u32_e64 v49, s1, 0, v37, s1
	v_add_co_u32 v54, s1, 0x880, v33
	v_add_co_ci_u32_e64 v55, s1, 0, v37, s1
	;; [unrolled: 2-line block ×3, first 2 shown]
	global_load_dwordx4 v[48:51], v[48:49], off offset:128
	v_add_co_u32 v56, s1, 0x800, v33
	v_add_co_ci_u32_e64 v57, s1, 0, v37, s1
	v_add_co_u32 v66, s1, 0x880, v33
	s_clause 0x1
	global_load_dwordx2 v[64:65], v[54:55], off offset:32
	global_load_dwordx4 v[52:55], v[54:55], off offset:16
	v_add_co_ci_u32_e64 v67, s1, 0, v37, s1
	s_clause 0x2
	global_load_dwordx4 v[56:59], v[56:57], off offset:128
	global_load_dwordx4 v[60:63], v[66:67], off offset:16
	global_load_dwordx2 v[66:67], v[66:67], off offset:32
	s_waitcnt vmcnt(0) lgkmcnt(0)
	s_barrier
	buffer_gl0_inv
	v_mul_f32_e32 v33, v49, v1
	v_mul_f32_e32 v37, v49, v0
	v_mul_f32_e32 v43, v51, v5
	v_mul_f32_e32 v49, v51, v4
	v_fma_f32 v33, v48, v0, -v33
	v_mul_f32_e32 v69, v65, v17
	v_mul_f32_e32 v51, v53, v9
	;; [unrolled: 1-line block ×16, first 2 shown]
	v_fmac_f32_e32 v37, v48, v1
	v_fmac_f32_e32 v49, v50, v5
	v_fma_f32 v1, v52, v8, -v51
	v_fmac_f32_e32 v53, v52, v9
	v_fma_f32 v5, v64, v16, -v69
	;; [unrolled: 2-line block ×3, first 2 shown]
	v_fma_f32 v4, v54, v12, -v68
	v_fmac_f32_e32 v55, v54, v13
	v_fma_f32 v8, v56, v2, -v70
	v_fmac_f32_e32 v57, v56, v3
	v_fma_f32 v2, v58, v6, -v71
	v_fmac_f32_e32 v59, v58, v7
	v_fma_f32 v3, v60, v10, -v72
	v_fmac_f32_e32 v61, v60, v11
	v_fma_f32 v6, v14, v62, -v73
	v_fmac_f32_e32 v63, v15, v62
	v_fma_f32 v7, v18, v66, -v74
	v_fmac_f32_e32 v67, v19, v66
	v_add_f32_e32 v15, v1, v5
	v_add_f32_e32 v18, v53, v65
	;; [unrolled: 1-line block ×4, first 2 shown]
	v_sub_f32_e32 v11, v49, v55
	v_add_f32_e32 v12, v42, v49
	v_add_f32_e32 v13, v49, v55
	;; [unrolled: 1-line block ×3, first 2 shown]
	v_sub_f32_e32 v16, v53, v65
	v_add_f32_e32 v17, v37, v53
	v_sub_f32_e32 v1, v1, v5
	v_add_f32_e32 v19, v39, v2
	v_add_f32_e32 v43, v2, v6
	;; [unrolled: 1-line block ×3, first 2 shown]
	v_sub_f32_e32 v51, v2, v6
	v_add_f32_e32 v2, v8, v3
	v_add_f32_e32 v52, v3, v7
	v_add_f32_e32 v54, v57, v61
	v_add_f32_e32 v56, v61, v67
	v_fmac_f32_e32 v33, -0.5, v15
	v_fmac_f32_e32 v37, -0.5, v18
	v_sub_f32_e32 v0, v0, v4
	v_add_f32_e32 v50, v59, v63
	v_sub_f32_e32 v53, v61, v67
	v_sub_f32_e32 v58, v3, v7
	v_add_f32_e32 v3, v9, v4
	v_fma_f32 v9, -0.5, v10, v41
	v_add_f32_e32 v4, v12, v55
	v_fmac_f32_e32 v42, -0.5, v13
	v_add_f32_e32 v5, v14, v5
	v_add_f32_e32 v10, v17, v65
	;; [unrolled: 1-line block ×5, first 2 shown]
	v_fmac_f32_e32 v8, -0.5, v52
	v_add_f32_e32 v13, v54, v67
	v_fmac_f32_e32 v57, -0.5, v56
	v_fmamk_f32 v15, v16, 0x3f5db3d7, v33
	v_fmac_f32_e32 v33, 0xbf5db3d7, v16
	v_fmamk_f32 v16, v1, 0xbf5db3d7, v37
	v_fmac_f32_e32 v37, 0x3f5db3d7, v1
	v_sub_f32_e32 v48, v59, v63
	v_fma_f32 v17, -0.5, v43, v39
	v_fmac_f32_e32 v40, -0.5, v50
	v_fmamk_f32 v14, v11, 0x3f5db3d7, v9
	v_fmac_f32_e32 v9, 0xbf5db3d7, v11
	v_fmamk_f32 v11, v0, 0xbf5db3d7, v42
	v_fmac_f32_e32 v42, 0x3f5db3d7, v0
	v_add_f32_e32 v0, v3, v5
	v_add_f32_e32 v1, v4, v10
	v_sub_f32_e32 v2, v3, v5
	v_sub_f32_e32 v3, v4, v10
	v_fmamk_f32 v10, v53, 0x3f5db3d7, v8
	v_fmac_f32_e32 v8, 0xbf5db3d7, v53
	v_fmamk_f32 v39, v58, 0xbf5db3d7, v57
	v_fmac_f32_e32 v57, 0x3f5db3d7, v58
	v_add_f32_e32 v4, v6, v7
	v_add_f32_e32 v5, v12, v13
	v_sub_f32_e32 v6, v6, v7
	v_sub_f32_e32 v7, v12, v13
	v_mul_f32_e32 v12, 0x3f5db3d7, v16
	v_mul_f32_e32 v41, 0xbf5db3d7, v15
	v_mul_f32_e32 v13, -0.5, v33
	v_mul_f32_e32 v43, -0.5, v37
	v_fmamk_f32 v18, v48, 0x3f5db3d7, v17
	v_fmac_f32_e32 v17, 0xbf5db3d7, v48
	v_fmamk_f32 v19, v51, 0xbf5db3d7, v40
	v_fmac_f32_e32 v40, 0x3f5db3d7, v51
	v_mul_f32_e32 v48, 0x3f5db3d7, v39
	v_mul_f32_e32 v49, -0.5, v8
	v_mul_f32_e32 v50, 0xbf5db3d7, v10
	v_mul_f32_e32 v51, -0.5, v57
	v_fmac_f32_e32 v12, 0.5, v15
	v_fmac_f32_e32 v41, 0.5, v16
	v_fmac_f32_e32 v13, 0x3f5db3d7, v37
	v_fmac_f32_e32 v43, 0xbf5db3d7, v33
	ds_write_b64 v45, v[0:1]
	ds_write_b64 v45, v[2:3] offset:6936
	v_fmac_f32_e32 v48, 0.5, v10
	v_fmac_f32_e32 v49, 0x3f5db3d7, v57
	v_fmac_f32_e32 v50, 0.5, v39
	v_fmac_f32_e32 v51, 0xbf5db3d7, v8
	v_add_f32_e32 v0, v14, v12
	v_add_f32_e32 v1, v11, v41
	;; [unrolled: 1-line block ×4, first 2 shown]
	v_sub_f32_e32 v8, v14, v12
	v_sub_f32_e32 v10, v9, v13
	;; [unrolled: 1-line block ×4, first 2 shown]
	v_add_f32_e32 v12, v18, v48
	v_add_f32_e32 v14, v17, v49
	;; [unrolled: 1-line block ×4, first 2 shown]
	v_sub_f32_e32 v16, v18, v48
	v_sub_f32_e32 v18, v17, v49
	;; [unrolled: 1-line block ×4, first 2 shown]
	ds_write_b64 v45, v[0:1] offset:2312
	ds_write_b64 v45, v[2:3] offset:4624
	;; [unrolled: 1-line block ×4, first 2 shown]
	ds_write_b64 v47, v[4:5]
	ds_write_b64 v47, v[6:7] offset:6936
	ds_write_b64 v47, v[12:13] offset:2312
	;; [unrolled: 1-line block ×5, first 2 shown]
	s_and_saveexec_b32 s1, s0
	s_cbranch_execz .LBB0_17
; %bb.16:
	v_add_nc_u32_e32 v0, 0xffffffab, v32
	v_cndmask_b32_e64 v0, v0, v38, s0
	v_mul_i32_i24_e32 v43, 5, v0
	v_lshlrev_b64 v[0:1], 3, v[43:44]
	v_add_co_u32 v2, s0, s8, v0
	v_add_co_ci_u32_e64 v3, s0, s9, v1, s0
	v_add_co_u32 v0, s0, 0x800, v2
	v_add_co_ci_u32_e64 v1, s0, 0, v3, s0
	;; [unrolled: 2-line block ×3, first 2 shown]
	s_clause 0x2
	global_load_dwordx4 v[0:3], v[0:1], off offset:128
	global_load_dwordx4 v[4:7], v[8:9], off offset:16
	global_load_dwordx2 v[8:9], v[8:9], off offset:32
	s_waitcnt vmcnt(2)
	v_mul_f32_e32 v10, v25, v3
	s_waitcnt vmcnt(1)
	v_mul_f32_e32 v11, v21, v7
	v_mul_f32_e32 v3, v24, v3
	;; [unrolled: 1-line block ×5, first 2 shown]
	s_waitcnt vmcnt(0)
	v_mul_f32_e32 v14, v31, v9
	v_mul_f32_e32 v5, v22, v5
	;; [unrolled: 1-line block ×4, first 2 shown]
	v_fma_f32 v10, v24, v2, -v10
	v_fma_f32 v11, v20, v6, -v11
	v_fmac_f32_e32 v3, v25, v2
	v_fmac_f32_e32 v7, v21, v6
	v_fma_f32 v2, v28, v0, -v12
	v_fma_f32 v6, v22, v4, -v13
	;; [unrolled: 1-line block ×3, first 2 shown]
	v_fmac_f32_e32 v5, v23, v4
	v_fmac_f32_e32 v9, v31, v8
	;; [unrolled: 1-line block ×3, first 2 shown]
	v_sub_f32_e32 v0, v10, v11
	v_add_f32_e32 v8, v6, v12
	v_sub_f32_e32 v14, v6, v12
	v_add_f32_e32 v15, v5, v9
	;; [unrolled: 2-line block ×3, first 2 shown]
	v_add_f32_e32 v17, v10, v11
	v_add_f32_e32 v10, v26, v10
	v_fma_f32 v8, -0.5, v8, v2
	v_fma_f32 v15, -0.5, v15, v1
	v_add_f32_e32 v4, v3, v7
	v_add_f32_e32 v5, v1, v5
	v_sub_f32_e32 v3, v3, v7
	v_add_f32_e32 v6, v2, v6
	v_add_f32_e32 v2, v16, v7
	;; [unrolled: 1-line block ×3, first 2 shown]
	v_fmamk_f32 v10, v13, 0xbf5db3d7, v8
	v_fmamk_f32 v11, v14, 0x3f5db3d7, v15
	v_fmac_f32_e32 v15, 0xbf5db3d7, v14
	v_fmac_f32_e32 v8, 0x3f5db3d7, v13
	v_fma_f32 v4, -0.5, v4, v27
	v_add_f32_e32 v5, v5, v9
	v_fma_f32 v16, -0.5, v17, v26
	v_add_f32_e32 v6, v6, v12
	v_mul_f32_e32 v13, -0.5, v11
	v_mul_f32_e32 v14, 0xbf5db3d7, v8
	v_mul_f32_e32 v18, 0x3f5db3d7, v15
	v_mul_f32_e32 v17, -0.5, v10
	v_fmamk_f32 v9, v0, 0x3f5db3d7, v4
	v_fmac_f32_e32 v4, 0xbf5db3d7, v0
	v_sub_f32_e32 v1, v2, v5
	v_fmamk_f32 v12, v3, 0xbf5db3d7, v16
	v_fmac_f32_e32 v16, 0x3f5db3d7, v3
	v_add_f32_e32 v3, v2, v5
	v_add_f32_e32 v2, v7, v6
	v_fmac_f32_e32 v13, 0xbf5db3d7, v10
	v_fmac_f32_e32 v14, 0.5, v15
	v_fmac_f32_e32 v18, 0.5, v8
	v_fmac_f32_e32 v17, 0x3f5db3d7, v11
	v_sub_f32_e32 v0, v7, v6
	ds_write_b64 v45, v[2:3] offset:1632
	v_sub_f32_e32 v3, v9, v13
	v_add_f32_e32 v7, v9, v13
	v_add_f32_e32 v9, v4, v14
	;; [unrolled: 1-line block ×4, first 2 shown]
	v_sub_f32_e32 v5, v4, v14
	v_sub_f32_e32 v4, v16, v18
	;; [unrolled: 1-line block ×3, first 2 shown]
	ds_write_b64 v45, v[0:1] offset:8568
	ds_write_b64 v45, v[8:9] offset:3944
	;; [unrolled: 1-line block ×5, first 2 shown]
.LBB0_17:
	s_or_b32 exec_lo, exec_lo, s1
	s_waitcnt lgkmcnt(0)
	s_barrier
	buffer_gl0_inv
	ds_read_b64 v[2:3], v45
	v_lshlrev_b32_e32 v0, 3, v32
	s_add_u32 s1, s8, 0x35a8
	s_addc_u32 s4, s9, 0
	s_mov_b32 s5, exec_lo
                                        ; implicit-def: $vgpr1
                                        ; implicit-def: $vgpr5
	v_sub_nc_u32_e32 v4, 0, v0
	v_cmpx_ne_u32_e32 0, v32
	s_xor_b32 s5, exec_lo, s5
	s_cbranch_execz .LBB0_19
; %bb.18:
	v_mov_b32_e32 v33, 0
	v_lshlrev_b64 v[0:1], 3, v[32:33]
	v_add_co_u32 v0, s0, s1, v0
	v_add_co_ci_u32_e64 v1, s0, s4, v1, s0
	global_load_dwordx2 v[6:7], v[0:1], off
	ds_read_b64 v[0:1], v4 offset:13872
	s_waitcnt lgkmcnt(0)
	v_sub_f32_e32 v5, v2, v0
	v_add_f32_e32 v8, v1, v3
	v_sub_f32_e32 v1, v3, v1
	v_add_f32_e32 v0, v0, v2
	v_mul_f32_e32 v3, 0.5, v5
	v_mul_f32_e32 v2, 0.5, v8
	;; [unrolled: 1-line block ×3, first 2 shown]
	s_waitcnt vmcnt(0)
	v_mul_f32_e32 v5, v7, v3
	v_fma_f32 v8, v2, v7, v1
	v_fma_f32 v1, v2, v7, -v1
	v_fma_f32 v9, 0.5, v0, v5
	v_fma_f32 v0, v0, 0.5, -v5
	v_fma_f32 v5, -v6, v3, v8
	v_fma_f32 v1, -v6, v3, v1
	v_fmac_f32_e32 v9, v6, v2
	v_fma_f32 v0, -v6, v2, v0
                                        ; implicit-def: $vgpr2_vgpr3
	ds_write_b32 v45, v9
.LBB0_19:
	s_andn2_saveexec_b32 s0, s5
	s_cbranch_execz .LBB0_21
; %bb.20:
	v_mov_b32_e32 v5, 0
	s_waitcnt lgkmcnt(0)
	v_add_f32_e32 v6, v2, v3
	v_sub_f32_e32 v0, v2, v3
	ds_read_b32 v1, v5 offset:6940
	s_waitcnt lgkmcnt(0)
	v_xor_b32_e32 v2, 0x80000000, v1
	v_mov_b32_e32 v1, v5
	ds_write_b32 v45, v6
	ds_write_b32 v5, v2 offset:6940
.LBB0_21:
	s_or_b32 exec_lo, exec_lo, s0
	v_mov_b32_e32 v37, 0
	s_mov_b32 s5, exec_lo
	s_waitcnt lgkmcnt(0)
	v_lshlrev_b64 v[2:3], 3, v[36:37]
	v_mov_b32_e32 v39, v37
	v_add_nc_u32_e32 v36, 0x132, v32
	v_lshlrev_b64 v[6:7], 3, v[38:39]
	v_add_co_u32 v2, s0, s1, v2
	v_add_co_ci_u32_e64 v3, s0, s4, v3, s0
	v_lshlrev_b64 v[8:9], 3, v[36:37]
	v_add_co_u32 v6, s0, s1, v6
	global_load_dwordx2 v[2:3], v[2:3], off
	v_add_co_ci_u32_e64 v7, s0, s4, v7, s0
	v_add_co_u32 v8, s0, s1, v8
	v_add_co_ci_u32_e64 v9, s0, s4, v9, s0
	global_load_dwordx2 v[6:7], v[6:7], off
	v_add_nc_u32_e32 v36, 0x198, v32
	global_load_dwordx2 v[8:9], v[8:9], off
	v_lshlrev_b64 v[10:11], 3, v[36:37]
	v_add_nc_u32_e32 v36, 0x1fe, v32
	v_add_co_u32 v10, s0, s1, v10
	v_add_co_ci_u32_e64 v11, s0, s4, v11, s0
	v_lshlrev_b64 v[12:13], 3, v[36:37]
	v_add_nc_u32_e32 v36, 0x264, v32
	global_load_dwordx2 v[10:11], v[10:11], off
	v_add_co_u32 v12, s0, s1, v12
	v_add_co_ci_u32_e64 v13, s0, s4, v13, s0
	v_lshlrev_b64 v[14:15], 3, v[36:37]
	v_add_nc_u32_e32 v36, 0x2ca, v32
	global_load_dwordx2 v[12:13], v[12:13], off
	v_add_co_u32 v14, s0, s1, v14
	v_add_co_ci_u32_e64 v15, s0, s4, v15, s0
	v_lshlrev_b64 v[16:17], 3, v[36:37]
	global_load_dwordx2 v[14:15], v[14:15], off
	ds_write_b32 v45, v5 offset:4
	ds_write_b64 v4, v[0:1] offset:13872
	v_add_co_u32 v16, s0, s1, v16
	v_add_co_ci_u32_e64 v17, s0, s4, v17, s0
	global_load_dwordx2 v[0:1], v[16:17], off
	ds_read_b64 v[16:17], v47
	ds_read_b64 v[18:19], v4 offset:13056
	s_waitcnt lgkmcnt(0)
	v_sub_f32_e32 v5, v16, v18
	v_add_f32_e32 v20, v17, v19
	v_sub_f32_e32 v17, v17, v19
	v_add_f32_e32 v18, v16, v18
	v_mul_f32_e32 v5, 0.5, v5
	v_mul_f32_e32 v19, 0.5, v20
	;; [unrolled: 1-line block ×3, first 2 shown]
	s_waitcnt vmcnt(6)
	v_mul_f32_e32 v20, v3, v5
	v_fma_f32 v21, v19, v3, v17
	v_fma_f32 v3, v19, v3, -v17
	v_fma_f32 v16, 0.5, v18, v20
	v_fma_f32 v18, v18, 0.5, -v20
	v_fma_f32 v17, -v2, v5, v21
	v_fma_f32 v3, -v2, v5, v3
	v_fmac_f32_e32 v16, v2, v19
	v_fma_f32 v2, -v2, v19, v18
	ds_write_b64 v47, v[16:17]
	ds_write_b64 v4, v[2:3] offset:13056
	ds_read_b64 v[2:3], v46
	ds_read_b64 v[16:17], v4 offset:12240
	s_waitcnt lgkmcnt(0)
	v_sub_f32_e32 v5, v2, v16
	v_add_f32_e32 v18, v3, v17
	v_sub_f32_e32 v3, v3, v17
	v_add_f32_e32 v16, v2, v16
	v_mul_f32_e32 v5, 0.5, v5
	v_mul_f32_e32 v17, 0.5, v18
	;; [unrolled: 1-line block ×3, first 2 shown]
	s_waitcnt vmcnt(5)
	v_mul_f32_e32 v18, v7, v5
	v_fma_f32 v19, v17, v7, v3
	v_fma_f32 v7, v17, v7, -v3
	v_fma_f32 v2, 0.5, v16, v18
	v_fma_f32 v16, v16, 0.5, -v18
	v_fma_f32 v3, -v6, v5, v19
	v_fma_f32 v7, -v6, v5, v7
	v_fmac_f32_e32 v2, v6, v17
	v_fma_f32 v6, -v6, v17, v16
	ds_write_b64 v46, v[2:3]
	ds_write_b64 v4, v[6:7] offset:12240
	ds_read_b64 v[2:3], v45 offset:2448
	ds_read_b64 v[5:6], v4 offset:11424
	s_waitcnt lgkmcnt(0)
	v_sub_f32_e32 v7, v2, v5
	v_add_f32_e32 v16, v3, v6
	v_sub_f32_e32 v3, v3, v6
	v_add_f32_e32 v5, v2, v5
	v_mul_f32_e32 v6, 0.5, v7
	v_mul_f32_e32 v7, 0.5, v16
	v_mul_f32_e32 v3, 0.5, v3
	s_waitcnt vmcnt(4)
	v_mul_f32_e32 v16, v9, v6
	v_fma_f32 v17, v7, v9, v3
	v_fma_f32 v9, v7, v9, -v3
	v_fma_f32 v2, 0.5, v5, v16
	v_fma_f32 v5, v5, 0.5, -v16
	v_fma_f32 v3, -v8, v6, v17
	v_fma_f32 v6, -v8, v6, v9
	v_fmac_f32_e32 v2, v8, v7
	v_fma_f32 v5, -v8, v7, v5
	ds_write_b64 v45, v[2:3] offset:2448
	ds_write_b64 v4, v[5:6] offset:11424
	ds_read_b64 v[2:3], v45 offset:3264
	ds_read_b64 v[5:6], v4 offset:10608
	s_waitcnt lgkmcnt(0)
	v_sub_f32_e32 v7, v2, v5
	v_add_f32_e32 v8, v3, v6
	v_sub_f32_e32 v3, v3, v6
	v_add_f32_e32 v5, v2, v5
	v_mul_f32_e32 v6, 0.5, v7
	v_mul_f32_e32 v7, 0.5, v8
	v_mul_f32_e32 v3, 0.5, v3
	s_waitcnt vmcnt(3)
	v_mul_f32_e32 v8, v11, v6
	v_fma_f32 v9, v7, v11, v3
	v_fma_f32 v11, v7, v11, -v3
	v_fma_f32 v2, 0.5, v5, v8
	v_fma_f32 v5, v5, 0.5, -v8
	v_fma_f32 v3, -v10, v6, v9
	v_fma_f32 v6, -v10, v6, v11
	v_fmac_f32_e32 v2, v10, v7
	v_fma_f32 v5, -v10, v7, v5
	ds_write_b64 v45, v[2:3] offset:3264
	;; [unrolled: 22-line block ×5, first 2 shown]
	ds_write_b64 v4, v[5:6] offset:8160
	v_cmpx_gt_u32_e32 51, v32
	s_cbranch_execz .LBB0_23
; %bb.22:
	v_add_nc_u32_e32 v36, 0x330, v32
	v_lshlrev_b64 v[0:1], 3, v[36:37]
	v_add_co_u32 v0, s0, s1, v0
	v_add_co_ci_u32_e64 v1, s0, s4, v1, s0
	global_load_dwordx2 v[0:1], v[0:1], off
	ds_read_b64 v[2:3], v45 offset:6528
	ds_read_b64 v[5:6], v4 offset:7344
	s_waitcnt lgkmcnt(0)
	v_sub_f32_e32 v7, v2, v5
	v_add_f32_e32 v8, v3, v6
	v_sub_f32_e32 v3, v3, v6
	v_add_f32_e32 v2, v2, v5
	v_mul_f32_e32 v6, 0.5, v7
	v_mul_f32_e32 v7, 0.5, v8
	;; [unrolled: 1-line block ×3, first 2 shown]
	s_waitcnt vmcnt(0)
	v_mul_f32_e32 v5, v1, v6
	v_fma_f32 v8, v7, v1, v3
	v_fma_f32 v3, v7, v1, -v3
	v_fma_f32 v1, 0.5, v2, v5
	v_fma_f32 v5, v2, 0.5, -v5
	v_fma_f32 v2, -v0, v6, v8
	v_fma_f32 v6, -v0, v6, v3
	v_fmac_f32_e32 v1, v0, v7
	v_fma_f32 v5, -v0, v7, v5
	ds_write_b64 v45, v[1:2] offset:6528
	ds_write_b64 v4, v[5:6] offset:7344
.LBB0_23:
	s_or_b32 exec_lo, exec_lo, s5
	s_waitcnt lgkmcnt(0)
	s_barrier
	buffer_gl0_inv
	s_and_saveexec_b32 s0, vcc_lo
	s_cbranch_execz .LBB0_26
; %bb.24:
	v_add_nc_u32_e32 v0, 0x400, v45
	ds_read2_b64 v[2:5], v45 offset1:102
	v_mov_b32_e32 v33, 0
	v_add_nc_u32_e32 v10, 0x800, v45
	v_add_nc_u32_e32 v14, 0x1000, v45
	ds_read2_b64 v[6:9], v0 offset0:76 offset1:178
	v_add_co_u32 v0, vcc_lo, s2, v34
	v_lshlrev_b64 v[18:19], 3, v[32:33]
	ds_read2_b64 v[10:13], v10 offset0:152 offset1:254
	ds_read2_b64 v[14:17], v14 offset0:100 offset1:202
	v_add_co_ci_u32_e32 v1, vcc_lo, s3, v35, vcc_lo
	v_add_nc_u32_e32 v20, 0x1800, v45
	v_add_co_u32 v22, vcc_lo, v0, v18
	v_add_co_ci_u32_e32 v23, vcc_lo, v1, v19, vcc_lo
	ds_read2_b64 v[18:21], v20 offset0:48 offset1:150
	v_add_co_u32 v24, vcc_lo, 0x800, v22
	v_add_co_ci_u32_e32 v25, vcc_lo, 0, v23, vcc_lo
	s_waitcnt lgkmcnt(4)
	global_store_dwordx2 v[22:23], v[2:3], off
	global_store_dwordx2 v[22:23], v[4:5], off offset:816
	s_waitcnt lgkmcnt(3)
	global_store_dwordx2 v[22:23], v[6:7], off offset:1632
	v_add_nc_u32_e32 v2, 0x1c00, v45
	v_add_nc_u32_e32 v6, 0x2400, v45
	v_add_co_u32 v26, vcc_lo, 0x1000, v22
	v_add_co_ci_u32_e32 v27, vcc_lo, 0, v23, vcc_lo
	ds_read2_b64 v[2:5], v2 offset0:124 offset1:226
	global_store_dwordx2 v[24:25], v[8:9], off offset:400
	ds_read2_b64 v[6:9], v6 offset0:72 offset1:174
	s_waitcnt lgkmcnt(4)
	global_store_dwordx2 v[24:25], v[10:11], off offset:1216
	global_store_dwordx2 v[24:25], v[12:13], off offset:2032
	s_waitcnt lgkmcnt(3)
	global_store_dwordx2 v[26:27], v[14:15], off offset:800
	v_add_nc_u32_e32 v10, 0x2800, v45
	ds_read2_b64 v[10:13], v10 offset0:148 offset1:250
	ds_read_b64 v[24:25], v45 offset:13056
	v_add_co_u32 v14, vcc_lo, 0x1800, v22
	v_add_co_ci_u32_e32 v15, vcc_lo, 0, v23, vcc_lo
	v_add_co_u32 v28, vcc_lo, 0x2000, v22
	v_add_co_ci_u32_e32 v29, vcc_lo, 0, v23, vcc_lo
	global_store_dwordx2 v[26:27], v[16:17], off offset:1616
	s_waitcnt lgkmcnt(4)
	global_store_dwordx2 v[14:15], v[18:19], off offset:384
	global_store_dwordx2 v[14:15], v[20:21], off offset:1200
	s_waitcnt lgkmcnt(3)
	global_store_dwordx2 v[14:15], v[2:3], off offset:2016
	;; [unrolled: 3-line block ×3, first 2 shown]
	v_add_co_u32 v2, vcc_lo, 0x2800, v22
	v_add_co_ci_u32_e32 v3, vcc_lo, 0, v23, vcc_lo
	v_add_co_u32 v4, vcc_lo, 0x3000, v22
	v_add_co_ci_u32_e32 v5, vcc_lo, 0, v23, vcc_lo
	v_cmp_eq_u32_e32 vcc_lo, 0x65, v32
	global_store_dwordx2 v[2:3], v[8:9], off offset:368
	s_waitcnt lgkmcnt(1)
	global_store_dwordx2 v[2:3], v[10:11], off offset:1184
	global_store_dwordx2 v[2:3], v[12:13], off offset:2000
	s_waitcnt lgkmcnt(0)
	global_store_dwordx2 v[4:5], v[24:25], off offset:768
	s_and_b32 exec_lo, exec_lo, vcc_lo
	s_cbranch_execz .LBB0_26
; %bb.25:
	ds_read_b64 v[2:3], v33 offset:13872
	v_add_co_u32 v0, vcc_lo, 0x3000, v0
	v_add_co_ci_u32_e32 v1, vcc_lo, 0, v1, vcc_lo
	s_waitcnt lgkmcnt(0)
	global_store_dwordx2 v[0:1], v[2:3], off offset:1584
.LBB0_26:
	s_endpgm
	.section	.rodata,"a",@progbits
	.p2align	6, 0x0
	.amdhsa_kernel fft_rtc_fwd_len1734_factors_17_17_6_wgs_102_tpt_102_halfLds_sp_ip_CI_unitstride_sbrr_R2C_dirReg
		.amdhsa_group_segment_fixed_size 0
		.amdhsa_private_segment_fixed_size 0
		.amdhsa_kernarg_size 88
		.amdhsa_user_sgpr_count 6
		.amdhsa_user_sgpr_private_segment_buffer 1
		.amdhsa_user_sgpr_dispatch_ptr 0
		.amdhsa_user_sgpr_queue_ptr 0
		.amdhsa_user_sgpr_kernarg_segment_ptr 1
		.amdhsa_user_sgpr_dispatch_id 0
		.amdhsa_user_sgpr_flat_scratch_init 0
		.amdhsa_user_sgpr_private_segment_size 0
		.amdhsa_wavefront_size32 1
		.amdhsa_uses_dynamic_stack 0
		.amdhsa_system_sgpr_private_segment_wavefront_offset 0
		.amdhsa_system_sgpr_workgroup_id_x 1
		.amdhsa_system_sgpr_workgroup_id_y 0
		.amdhsa_system_sgpr_workgroup_id_z 0
		.amdhsa_system_sgpr_workgroup_info 0
		.amdhsa_system_vgpr_workitem_id 0
		.amdhsa_next_free_vgpr 92
		.amdhsa_next_free_sgpr 21
		.amdhsa_reserve_vcc 1
		.amdhsa_reserve_flat_scratch 0
		.amdhsa_float_round_mode_32 0
		.amdhsa_float_round_mode_16_64 0
		.amdhsa_float_denorm_mode_32 3
		.amdhsa_float_denorm_mode_16_64 3
		.amdhsa_dx10_clamp 1
		.amdhsa_ieee_mode 1
		.amdhsa_fp16_overflow 0
		.amdhsa_workgroup_processor_mode 1
		.amdhsa_memory_ordered 1
		.amdhsa_forward_progress 0
		.amdhsa_shared_vgpr_count 0
		.amdhsa_exception_fp_ieee_invalid_op 0
		.amdhsa_exception_fp_denorm_src 0
		.amdhsa_exception_fp_ieee_div_zero 0
		.amdhsa_exception_fp_ieee_overflow 0
		.amdhsa_exception_fp_ieee_underflow 0
		.amdhsa_exception_fp_ieee_inexact 0
		.amdhsa_exception_int_div_zero 0
	.end_amdhsa_kernel
	.text
.Lfunc_end0:
	.size	fft_rtc_fwd_len1734_factors_17_17_6_wgs_102_tpt_102_halfLds_sp_ip_CI_unitstride_sbrr_R2C_dirReg, .Lfunc_end0-fft_rtc_fwd_len1734_factors_17_17_6_wgs_102_tpt_102_halfLds_sp_ip_CI_unitstride_sbrr_R2C_dirReg
                                        ; -- End function
	.section	.AMDGPU.csdata,"",@progbits
; Kernel info:
; codeLenInByte = 16288
; NumSgprs: 23
; NumVgprs: 92
; ScratchSize: 0
; MemoryBound: 0
; FloatMode: 240
; IeeeMode: 1
; LDSByteSize: 0 bytes/workgroup (compile time only)
; SGPRBlocks: 2
; VGPRBlocks: 11
; NumSGPRsForWavesPerEU: 23
; NumVGPRsForWavesPerEU: 92
; Occupancy: 10
; WaveLimiterHint : 1
; COMPUTE_PGM_RSRC2:SCRATCH_EN: 0
; COMPUTE_PGM_RSRC2:USER_SGPR: 6
; COMPUTE_PGM_RSRC2:TRAP_HANDLER: 0
; COMPUTE_PGM_RSRC2:TGID_X_EN: 1
; COMPUTE_PGM_RSRC2:TGID_Y_EN: 0
; COMPUTE_PGM_RSRC2:TGID_Z_EN: 0
; COMPUTE_PGM_RSRC2:TIDIG_COMP_CNT: 0
	.text
	.p2alignl 6, 3214868480
	.fill 48, 4, 3214868480
	.type	__hip_cuid_e22e16adbb3c1aec,@object ; @__hip_cuid_e22e16adbb3c1aec
	.section	.bss,"aw",@nobits
	.globl	__hip_cuid_e22e16adbb3c1aec
__hip_cuid_e22e16adbb3c1aec:
	.byte	0                               ; 0x0
	.size	__hip_cuid_e22e16adbb3c1aec, 1

	.ident	"AMD clang version 19.0.0git (https://github.com/RadeonOpenCompute/llvm-project roc-6.4.0 25133 c7fe45cf4b819c5991fe208aaa96edf142730f1d)"
	.section	".note.GNU-stack","",@progbits
	.addrsig
	.addrsig_sym __hip_cuid_e22e16adbb3c1aec
	.amdgpu_metadata
---
amdhsa.kernels:
  - .args:
      - .actual_access:  read_only
        .address_space:  global
        .offset:         0
        .size:           8
        .value_kind:     global_buffer
      - .offset:         8
        .size:           8
        .value_kind:     by_value
      - .actual_access:  read_only
        .address_space:  global
        .offset:         16
        .size:           8
        .value_kind:     global_buffer
      - .actual_access:  read_only
        .address_space:  global
        .offset:         24
        .size:           8
        .value_kind:     global_buffer
      - .offset:         32
        .size:           8
        .value_kind:     by_value
      - .actual_access:  read_only
        .address_space:  global
        .offset:         40
        .size:           8
        .value_kind:     global_buffer
      - .actual_access:  read_only
        .address_space:  global
        .offset:         48
        .size:           8
        .value_kind:     global_buffer
      - .offset:         56
        .size:           4
        .value_kind:     by_value
      - .actual_access:  read_only
        .address_space:  global
        .offset:         64
        .size:           8
        .value_kind:     global_buffer
      - .actual_access:  read_only
        .address_space:  global
        .offset:         72
        .size:           8
        .value_kind:     global_buffer
      - .address_space:  global
        .offset:         80
        .size:           8
        .value_kind:     global_buffer
    .group_segment_fixed_size: 0
    .kernarg_segment_align: 8
    .kernarg_segment_size: 88
    .language:       OpenCL C
    .language_version:
      - 2
      - 0
    .max_flat_workgroup_size: 102
    .name:           fft_rtc_fwd_len1734_factors_17_17_6_wgs_102_tpt_102_halfLds_sp_ip_CI_unitstride_sbrr_R2C_dirReg
    .private_segment_fixed_size: 0
    .sgpr_count:     23
    .sgpr_spill_count: 0
    .symbol:         fft_rtc_fwd_len1734_factors_17_17_6_wgs_102_tpt_102_halfLds_sp_ip_CI_unitstride_sbrr_R2C_dirReg.kd
    .uniform_work_group_size: 1
    .uses_dynamic_stack: false
    .vgpr_count:     92
    .vgpr_spill_count: 0
    .wavefront_size: 32
    .workgroup_processor_mode: 1
amdhsa.target:   amdgcn-amd-amdhsa--gfx1030
amdhsa.version:
  - 1
  - 2
...

	.end_amdgpu_metadata
